;; amdgpu-corpus repo=ROCm/rocFFT kind=compiled arch=gfx1030 opt=O3
	.text
	.amdgcn_target "amdgcn-amd-amdhsa--gfx1030"
	.amdhsa_code_object_version 6
	.protected	fft_rtc_back_len2250_factors_10_3_5_3_5_wgs_90_tpt_90_halfLds_sp_ip_CI_sbrr_dirReg ; -- Begin function fft_rtc_back_len2250_factors_10_3_5_3_5_wgs_90_tpt_90_halfLds_sp_ip_CI_sbrr_dirReg
	.globl	fft_rtc_back_len2250_factors_10_3_5_3_5_wgs_90_tpt_90_halfLds_sp_ip_CI_sbrr_dirReg
	.p2align	8
	.type	fft_rtc_back_len2250_factors_10_3_5_3_5_wgs_90_tpt_90_halfLds_sp_ip_CI_sbrr_dirReg,@function
fft_rtc_back_len2250_factors_10_3_5_3_5_wgs_90_tpt_90_halfLds_sp_ip_CI_sbrr_dirReg: ; @fft_rtc_back_len2250_factors_10_3_5_3_5_wgs_90_tpt_90_halfLds_sp_ip_CI_sbrr_dirReg
; %bb.0:
	s_clause 0x2
	s_load_dwordx2 s[14:15], s[4:5], 0x18
	s_load_dwordx4 s[8:11], s[4:5], 0x0
	s_load_dwordx2 s[12:13], s[4:5], 0x50
	v_mul_u32_u24_e32 v1, 0x2d9, v0
	v_mov_b32_e32 v3, 0
	v_add_nc_u32_sdwa v5, s6, v1 dst_sel:DWORD dst_unused:UNUSED_PAD src0_sel:DWORD src1_sel:WORD_1
	v_mov_b32_e32 v1, 0
	v_mov_b32_e32 v6, v3
	v_mov_b32_e32 v2, 0
	s_waitcnt lgkmcnt(0)
	s_load_dwordx2 s[2:3], s[14:15], 0x0
	v_cmp_lt_u64_e64 s0, s[10:11], 2
	s_and_b32 vcc_lo, exec_lo, s0
	s_cbranch_vccnz .LBB0_8
; %bb.1:
	s_load_dwordx2 s[0:1], s[4:5], 0x10
	v_mov_b32_e32 v1, 0
	s_add_u32 s6, s14, 8
	v_mov_b32_e32 v2, 0
	s_addc_u32 s7, s15, 0
	s_mov_b64 s[18:19], 1
	s_waitcnt lgkmcnt(0)
	s_add_u32 s16, s0, 8
	s_addc_u32 s17, s1, 0
.LBB0_2:                                ; =>This Inner Loop Header: Depth=1
	s_load_dwordx2 s[20:21], s[16:17], 0x0
                                        ; implicit-def: $vgpr7_vgpr8
	s_mov_b32 s0, exec_lo
	s_waitcnt lgkmcnt(0)
	v_or_b32_e32 v4, s21, v6
	v_cmpx_ne_u64_e32 0, v[3:4]
	s_xor_b32 s1, exec_lo, s0
	s_cbranch_execz .LBB0_4
; %bb.3:                                ;   in Loop: Header=BB0_2 Depth=1
	v_cvt_f32_u32_e32 v4, s20
	v_cvt_f32_u32_e32 v7, s21
	s_sub_u32 s0, 0, s20
	s_subb_u32 s22, 0, s21
	v_fmac_f32_e32 v4, 0x4f800000, v7
	v_rcp_f32_e32 v4, v4
	v_mul_f32_e32 v4, 0x5f7ffffc, v4
	v_mul_f32_e32 v7, 0x2f800000, v4
	v_trunc_f32_e32 v7, v7
	v_fmac_f32_e32 v4, 0xcf800000, v7
	v_cvt_u32_f32_e32 v7, v7
	v_cvt_u32_f32_e32 v4, v4
	v_mul_lo_u32 v8, s0, v7
	v_mul_hi_u32 v9, s0, v4
	v_mul_lo_u32 v10, s22, v4
	v_add_nc_u32_e32 v8, v9, v8
	v_mul_lo_u32 v9, s0, v4
	v_add_nc_u32_e32 v8, v8, v10
	v_mul_hi_u32 v10, v4, v9
	v_mul_lo_u32 v11, v4, v8
	v_mul_hi_u32 v12, v4, v8
	v_mul_hi_u32 v13, v7, v9
	v_mul_lo_u32 v9, v7, v9
	v_mul_hi_u32 v14, v7, v8
	v_mul_lo_u32 v8, v7, v8
	v_add_co_u32 v10, vcc_lo, v10, v11
	v_add_co_ci_u32_e32 v11, vcc_lo, 0, v12, vcc_lo
	v_add_co_u32 v9, vcc_lo, v10, v9
	v_add_co_ci_u32_e32 v9, vcc_lo, v11, v13, vcc_lo
	v_add_co_ci_u32_e32 v10, vcc_lo, 0, v14, vcc_lo
	v_add_co_u32 v8, vcc_lo, v9, v8
	v_add_co_ci_u32_e32 v9, vcc_lo, 0, v10, vcc_lo
	v_add_co_u32 v4, vcc_lo, v4, v8
	v_add_co_ci_u32_e32 v7, vcc_lo, v7, v9, vcc_lo
	v_mul_hi_u32 v8, s0, v4
	v_mul_lo_u32 v10, s22, v4
	v_mul_lo_u32 v9, s0, v7
	v_add_nc_u32_e32 v8, v8, v9
	v_mul_lo_u32 v9, s0, v4
	v_add_nc_u32_e32 v8, v8, v10
	v_mul_hi_u32 v10, v4, v9
	v_mul_lo_u32 v11, v4, v8
	v_mul_hi_u32 v12, v4, v8
	v_mul_hi_u32 v13, v7, v9
	v_mul_lo_u32 v9, v7, v9
	v_mul_hi_u32 v14, v7, v8
	v_mul_lo_u32 v8, v7, v8
	v_add_co_u32 v10, vcc_lo, v10, v11
	v_add_co_ci_u32_e32 v11, vcc_lo, 0, v12, vcc_lo
	v_add_co_u32 v9, vcc_lo, v10, v9
	v_add_co_ci_u32_e32 v9, vcc_lo, v11, v13, vcc_lo
	v_add_co_ci_u32_e32 v10, vcc_lo, 0, v14, vcc_lo
	v_add_co_u32 v8, vcc_lo, v9, v8
	v_add_co_ci_u32_e32 v9, vcc_lo, 0, v10, vcc_lo
	v_add_co_u32 v4, vcc_lo, v4, v8
	v_add_co_ci_u32_e32 v11, vcc_lo, v7, v9, vcc_lo
	v_mul_hi_u32 v13, v5, v4
	v_mad_u64_u32 v[9:10], null, v6, v4, 0
	v_mad_u64_u32 v[7:8], null, v5, v11, 0
	;; [unrolled: 1-line block ×3, first 2 shown]
	v_add_co_u32 v4, vcc_lo, v13, v7
	v_add_co_ci_u32_e32 v7, vcc_lo, 0, v8, vcc_lo
	v_add_co_u32 v4, vcc_lo, v4, v9
	v_add_co_ci_u32_e32 v4, vcc_lo, v7, v10, vcc_lo
	v_add_co_ci_u32_e32 v7, vcc_lo, 0, v12, vcc_lo
	v_add_co_u32 v4, vcc_lo, v4, v11
	v_add_co_ci_u32_e32 v9, vcc_lo, 0, v7, vcc_lo
	v_mul_lo_u32 v10, s21, v4
	v_mad_u64_u32 v[7:8], null, s20, v4, 0
	v_mul_lo_u32 v11, s20, v9
	v_sub_co_u32 v7, vcc_lo, v5, v7
	v_add3_u32 v8, v8, v11, v10
	v_sub_nc_u32_e32 v10, v6, v8
	v_subrev_co_ci_u32_e64 v10, s0, s21, v10, vcc_lo
	v_add_co_u32 v11, s0, v4, 2
	v_add_co_ci_u32_e64 v12, s0, 0, v9, s0
	v_sub_co_u32 v13, s0, v7, s20
	v_sub_co_ci_u32_e32 v8, vcc_lo, v6, v8, vcc_lo
	v_subrev_co_ci_u32_e64 v10, s0, 0, v10, s0
	v_cmp_le_u32_e32 vcc_lo, s20, v13
	v_cmp_eq_u32_e64 s0, s21, v8
	v_cndmask_b32_e64 v13, 0, -1, vcc_lo
	v_cmp_le_u32_e32 vcc_lo, s21, v10
	v_cndmask_b32_e64 v14, 0, -1, vcc_lo
	v_cmp_le_u32_e32 vcc_lo, s20, v7
	;; [unrolled: 2-line block ×3, first 2 shown]
	v_cndmask_b32_e64 v15, 0, -1, vcc_lo
	v_cmp_eq_u32_e32 vcc_lo, s21, v10
	v_cndmask_b32_e64 v7, v15, v7, s0
	v_cndmask_b32_e32 v10, v14, v13, vcc_lo
	v_add_co_u32 v13, vcc_lo, v4, 1
	v_add_co_ci_u32_e32 v14, vcc_lo, 0, v9, vcc_lo
	v_cmp_ne_u32_e32 vcc_lo, 0, v10
	v_cndmask_b32_e32 v8, v14, v12, vcc_lo
	v_cndmask_b32_e32 v10, v13, v11, vcc_lo
	v_cmp_ne_u32_e32 vcc_lo, 0, v7
	v_cndmask_b32_e32 v8, v9, v8, vcc_lo
	v_cndmask_b32_e32 v7, v4, v10, vcc_lo
.LBB0_4:                                ;   in Loop: Header=BB0_2 Depth=1
	s_andn2_saveexec_b32 s0, s1
	s_cbranch_execz .LBB0_6
; %bb.5:                                ;   in Loop: Header=BB0_2 Depth=1
	v_cvt_f32_u32_e32 v4, s20
	s_sub_i32 s1, 0, s20
	v_rcp_iflag_f32_e32 v4, v4
	v_mul_f32_e32 v4, 0x4f7ffffe, v4
	v_cvt_u32_f32_e32 v4, v4
	v_mul_lo_u32 v7, s1, v4
	v_mul_hi_u32 v7, v4, v7
	v_add_nc_u32_e32 v4, v4, v7
	v_mul_hi_u32 v4, v5, v4
	v_mul_lo_u32 v7, v4, s20
	v_add_nc_u32_e32 v8, 1, v4
	v_sub_nc_u32_e32 v7, v5, v7
	v_subrev_nc_u32_e32 v9, s20, v7
	v_cmp_le_u32_e32 vcc_lo, s20, v7
	v_cndmask_b32_e32 v7, v7, v9, vcc_lo
	v_cndmask_b32_e32 v4, v4, v8, vcc_lo
	v_cmp_le_u32_e32 vcc_lo, s20, v7
	v_add_nc_u32_e32 v8, 1, v4
	v_cndmask_b32_e32 v7, v4, v8, vcc_lo
	v_mov_b32_e32 v8, v3
.LBB0_6:                                ;   in Loop: Header=BB0_2 Depth=1
	s_or_b32 exec_lo, exec_lo, s0
	s_load_dwordx2 s[0:1], s[6:7], 0x0
	v_mul_lo_u32 v4, v8, s20
	v_mul_lo_u32 v11, v7, s21
	v_mad_u64_u32 v[9:10], null, v7, s20, 0
	s_add_u32 s18, s18, 1
	s_addc_u32 s19, s19, 0
	s_add_u32 s6, s6, 8
	s_addc_u32 s7, s7, 0
	;; [unrolled: 2-line block ×3, first 2 shown]
	v_add3_u32 v4, v10, v11, v4
	v_sub_co_u32 v5, vcc_lo, v5, v9
	v_sub_co_ci_u32_e32 v4, vcc_lo, v6, v4, vcc_lo
	s_waitcnt lgkmcnt(0)
	v_mul_lo_u32 v6, s1, v5
	v_mul_lo_u32 v4, s0, v4
	v_mad_u64_u32 v[1:2], null, s0, v5, v[1:2]
	v_cmp_ge_u64_e64 s0, s[18:19], s[10:11]
	s_and_b32 vcc_lo, exec_lo, s0
	v_add3_u32 v2, v6, v2, v4
	s_cbranch_vccnz .LBB0_9
; %bb.7:                                ;   in Loop: Header=BB0_2 Depth=1
	v_mov_b32_e32 v5, v7
	v_mov_b32_e32 v6, v8
	s_branch .LBB0_2
.LBB0_8:
	v_mov_b32_e32 v8, v6
	v_mov_b32_e32 v7, v5
.LBB0_9:
	s_lshl_b64 s[0:1], s[10:11], 3
	v_mul_hi_u32 v3, 0x2d82d83, v0
	s_add_u32 s0, s14, s0
	s_addc_u32 s1, s15, s1
                                        ; implicit-def: $vgpr97
	s_load_dwordx2 s[0:1], s[0:1], 0x0
	s_load_dwordx2 s[4:5], s[4:5], 0x20
	v_mul_u32_u24_e32 v3, 0x5a, v3
	v_sub_nc_u32_e32 v96, v0, v3
	v_add_nc_u32_e32 v90, 0x5a, v96
	s_waitcnt lgkmcnt(0)
	v_mul_lo_u32 v4, s0, v8
	v_mul_lo_u32 v5, s1, v7
	v_mad_u64_u32 v[1:2], null, s0, v7, v[1:2]
	v_cmp_gt_u64_e32 vcc_lo, s[4:5], v[7:8]
	v_cmp_le_u64_e64 s0, s[4:5], v[7:8]
	v_add3_u32 v2, v5, v2, v4
	s_and_saveexec_b32 s1, s0
	s_xor_b32 s0, exec_lo, s1
; %bb.10:
	v_add_nc_u32_e32 v97, 0x5a, v96
; %bb.11:
	s_or_saveexec_b32 s1, s0
	v_lshlrev_b64 v[0:1], 3, v[1:2]
	v_add_nc_u32_e32 v95, 0x1c2, v96
	v_add_nc_u32_e32 v94, 0x384, v96
	;; [unrolled: 1-line block ×8, first 2 shown]
                                        ; implicit-def: $vgpr59
                                        ; implicit-def: $vgpr47
                                        ; implicit-def: $vgpr57
                                        ; implicit-def: $vgpr41
                                        ; implicit-def: $vgpr61
                                        ; implicit-def: $vgpr37
                                        ; implicit-def: $vgpr45
                                        ; implicit-def: $vgpr33
                                        ; implicit-def: $vgpr17
                                        ; implicit-def: $vgpr15
                                        ; implicit-def: $vgpr19
                                        ; implicit-def: $vgpr27
                                        ; implicit-def: $vgpr21
                                        ; implicit-def: $vgpr25
                                        ; implicit-def: $vgpr23
                                        ; implicit-def: $vgpr31
                                        ; implicit-def: $vgpr35
                                        ; implicit-def: $vgpr29
                                        ; implicit-def: $vgpr13
                                        ; implicit-def: $vgpr11
                                        ; implicit-def: $vgpr39
                                        ; implicit-def: $vgpr55
                                        ; implicit-def: $vgpr43
                                        ; implicit-def: $vgpr51
                                        ; implicit-def: $vgpr49
                                        ; implicit-def: $vgpr53
                                        ; implicit-def: $vgpr9
                                        ; implicit-def: $vgpr7
                                        ; implicit-def: $vgpr5
                                        ; implicit-def: $vgpr3
	s_xor_b32 exec_lo, exec_lo, s1
	s_cbranch_execz .LBB0_15
; %bb.12:
	v_add_nc_u32_e32 v11, 0xe1, v96
	v_mad_u64_u32 v[2:3], null, s2, v96, 0
	v_add_nc_u32_e32 v14, 0x2a3, v96
	v_mad_u64_u32 v[6:7], null, s2, v95, 0
	v_mad_u64_u32 v[4:5], null, s2, v11, 0
	v_add_co_u32 v37, s0, s12, v0
	v_add_co_ci_u32_e64 v41, s0, s13, v1, s0
	v_add_nc_u32_e32 v17, 0x465, v96
	v_add_nc_u32_e32 v22, 0x627, v96
	v_mad_u64_u32 v[8:9], null, s3, v96, v[3:4]
	v_mov_b32_e32 v3, v5
	v_mad_u64_u32 v[9:10], null, s2, v14, 0
	v_mov_b32_e32 v5, v7
	v_mad_u64_u32 v[15:16], null, s2, v17, 0
	v_mad_u64_u32 v[11:12], null, s3, v11, v[3:4]
	;; [unrolled: 1-line block ×3, first 2 shown]
	v_mov_b32_e32 v7, v10
	v_mov_b32_e32 v3, v8
	v_add_nc_u32_e32 v40, 0x4bf, v96
	v_mad_u64_u32 v[44:45], null, s2, v88, 0
	v_mov_b32_e32 v5, v11
	v_mad_u64_u32 v[10:11], null, s3, v14, v[7:8]
	v_mad_u64_u32 v[13:14], null, s2, v94, 0
	v_lshlrev_b64 v[2:3], 3, v[2:3]
	v_mov_b32_e32 v7, v12
	v_lshlrev_b64 v[4:5], 3, v[4:5]
	v_mad_u64_u32 v[38:39], null, s2, v40, 0
	v_lshlrev_b64 v[9:10], 3, v[9:10]
	v_mov_b32_e32 v8, v14
	v_add_co_u32 v2, s0, v37, v2
	v_lshlrev_b64 v[6:7], 3, v[6:7]
	v_add_co_ci_u32_e64 v3, s0, v41, v3, s0
	v_mad_u64_u32 v[11:12], null, s3, v94, v[8:9]
	v_add_co_u32 v4, s0, v37, v4
	v_add_co_ci_u32_e64 v5, s0, v41, v5, s0
	v_add_co_u32 v6, s0, v37, v6
	v_add_co_ci_u32_e64 v7, s0, v41, v7, s0
	v_mov_b32_e32 v14, v11
	v_mad_u64_u32 v[11:12], null, s2, v92, 0
	v_add_co_u32 v8, s0, v37, v9
	v_add_co_ci_u32_e64 v9, s0, v41, v10, s0
	v_mov_b32_e32 v10, v16
	v_mad_u64_u32 v[46:47], null, s2, v87, 0
	s_clause 0x3
	global_load_dwordx2 v[2:3], v[2:3], off
	global_load_dwordx2 v[4:5], v[4:5], off
	;; [unrolled: 1-line block ×4, first 2 shown]
	s_mov_b32 s4, exec_lo
	v_mad_u64_u32 v[16:17], null, s3, v17, v[10:11]
	v_mov_b32_e32 v10, v12
	v_lshlrev_b64 v[12:13], 3, v[13:14]
	v_mad_u64_u32 v[17:18], null, s2, v22, 0
                                        ; implicit-def: $vgpr60
	v_mad_u64_u32 v[19:20], null, s3, v92, v[10:11]
	v_add_co_u32 v20, s0, v37, v12
	v_add_co_ci_u32_e64 v21, s0, v41, v13, s0
	v_lshlrev_b64 v[13:14], 3, v[15:16]
	v_mad_u64_u32 v[15:16], null, s2, v93, 0
	v_mov_b32_e32 v10, v18
	v_mov_b32_e32 v12, v19
	v_add_co_u32 v13, s0, v37, v13
	v_mad_u64_u32 v[18:19], null, s3, v22, v[10:11]
	v_add_nc_u32_e32 v19, 0x7e9, v96
	v_lshlrev_b64 v[11:12], 3, v[11:12]
	v_mov_b32_e32 v10, v16
	v_add_co_ci_u32_e64 v14, s0, v41, v14, s0
	v_mad_u64_u32 v[22:23], null, s2, v19, 0
	v_mad_u64_u32 v[24:25], null, s3, v93, v[10:11]
	v_add_co_u32 v10, s0, v37, v11
	v_add_co_ci_u32_e64 v11, s0, v41, v12, s0
	v_mov_b32_e32 v12, v23
	v_lshlrev_b64 v[17:18], 3, v[17:18]
	v_mov_b32_e32 v16, v24
	v_mad_u64_u32 v[24:25], null, s2, v90, 0
	v_mad_u64_u32 v[26:27], null, s3, v19, v[12:13]
	v_add_nc_u32_e32 v19, 0x13b, v96
	v_lshlrev_b64 v[15:16], 3, v[15:16]
	v_add_co_u32 v17, s0, v37, v17
	v_mov_b32_e32 v12, v25
	v_mad_u64_u32 v[27:28], null, s2, v19, 0
	v_mov_b32_e32 v23, v26
	v_add_co_ci_u32_e64 v18, s0, v41, v18, s0
	v_mad_u64_u32 v[29:30], null, s3, v90, v[12:13]
	v_lshlrev_b64 v[22:23], 3, v[22:23]
	v_mov_b32_e32 v12, v28
	v_add_co_u32 v15, s0, v37, v15
	v_add_co_ci_u32_e64 v16, s0, v41, v16, s0
	v_mov_b32_e32 v25, v29
	v_mad_u64_u32 v[29:30], null, s2, v91, 0
	v_mad_u64_u32 v[31:32], null, s3, v19, v[12:13]
	v_add_nc_u32_e32 v19, 0x2fd, v96
	v_lshlrev_b64 v[24:25], 3, v[24:25]
	v_add_co_u32 v22, s0, v37, v22
	v_mov_b32_e32 v12, v30
	v_add_co_ci_u32_e64 v23, s0, v41, v23, s0
	v_mov_b32_e32 v28, v31
	v_mad_u64_u32 v[31:32], null, s2, v19, 0
	v_mad_u64_u32 v[33:34], null, s3, v91, v[12:13]
	;; [unrolled: 1-line block ×3, first 2 shown]
	v_lshlrev_b64 v[26:27], 3, v[27:28]
	v_add_co_u32 v24, s0, v37, v24
	v_mov_b32_e32 v12, v32
	v_mov_b32_e32 v30, v33
	v_add_co_ci_u32_e64 v25, s0, v41, v25, s0
	v_add_co_u32 v26, s0, v37, v26
	v_mad_u64_u32 v[32:33], null, s3, v19, v[12:13]
	v_mov_b32_e32 v12, v35
	v_lshlrev_b64 v[28:29], 3, v[29:30]
	v_add_nc_u32_e32 v19, 0x681, v96
	v_add_co_ci_u32_e64 v27, s0, v41, v27, s0
	v_mad_u64_u32 v[35:36], null, s3, v89, v[12:13]
	v_mov_b32_e32 v12, v39
	v_lshlrev_b64 v[30:31], 3, v[31:32]
	v_add_co_u32 v28, s0, v37, v28
	v_add_co_ci_u32_e64 v29, s0, v41, v29, s0
	v_mad_u64_u32 v[32:33], null, s3, v40, v[12:13]
	v_lshlrev_b64 v[33:34], 3, v[34:35]
	v_mad_u64_u32 v[35:36], null, s2, v19, 0
	v_mov_b32_e32 v12, v45
	v_add_co_u32 v30, s0, v37, v30
	v_mov_b32_e32 v39, v32
	v_add_co_ci_u32_e64 v31, s0, v41, v31, s0
	v_add_co_u32 v32, s0, v37, v33
	v_lshlrev_b64 v[38:39], 3, v[38:39]
	v_mad_u64_u32 v[42:43], null, s3, v88, v[12:13]
	v_mov_b32_e32 v12, v36
	v_add_co_ci_u32_e64 v33, s0, v41, v34, s0
	v_add_nc_u32_e32 v34, 0x843, v96
	v_add_co_u32 v56, s0, v37, v38
	v_add_co_ci_u32_e64 v57, s0, v41, v39, s0
	v_mad_u64_u32 v[38:39], null, s3, v19, v[12:13]
	v_mad_u64_u32 v[58:59], null, s2, v34, 0
	v_mov_b32_e32 v45, v42
	v_mov_b32_e32 v12, v47
	s_clause 0x3
	global_load_dwordx2 v[52:53], v[20:21], off
	global_load_dwordx2 v[48:49], v[13:14], off
	;; [unrolled: 1-line block ×4, first 2 shown]
                                        ; implicit-def: $vgpr40
	v_mov_b32_e32 v36, v38
	v_mad_u64_u32 v[17:18], null, s3, v87, v[12:13]
	s_clause 0x3
	global_load_dwordx2 v[54:55], v[15:16], off
	global_load_dwordx2 v[38:39], v[22:23], off
	;; [unrolled: 1-line block ×4, first 2 shown]
	v_lshlrev_b64 v[15:16], 3, v[44:45]
	v_mov_b32_e32 v14, v59
	v_mov_b32_e32 v47, v17
	v_mad_u64_u32 v[18:19], null, s3, v34, v[14:15]
	v_lshlrev_b64 v[19:20], 3, v[35:36]
	v_add_co_u32 v14, s0, v37, v15
	v_add_co_ci_u32_e64 v15, s0, v41, v16, s0
	v_lshlrev_b64 v[16:17], 3, v[46:47]
	v_mov_b32_e32 v59, v18
	v_add_co_u32 v18, s0, v37, v19
	v_add_co_ci_u32_e64 v19, s0, v41, v20, s0
	v_lshlrev_b64 v[20:21], 3, v[58:59]
	v_add_co_u32 v16, s0, v37, v16
	v_add_co_ci_u32_e64 v17, s0, v41, v17, s0
                                        ; implicit-def: $vgpr36
                                        ; implicit-def: $vgpr46
                                        ; implicit-def: $vgpr58
	v_add_co_u32 v44, s0, v37, v20
	v_add_co_ci_u32_e64 v45, s0, v41, v21, s0
	s_clause 0x7
	global_load_dwordx2 v[28:29], v[28:29], off
	global_load_dwordx2 v[34:35], v[30:31], off
	;; [unrolled: 1-line block ×8, first 2 shown]
                                        ; implicit-def: $vgpr14
                                        ; implicit-def: $vgpr16
                                        ; implicit-def: $vgpr32
                                        ; implicit-def: $vgpr44
                                        ; implicit-def: $vgpr56
	v_cmpx_gt_u32_e32 45, v96
	s_cbranch_execz .LBB0_14
; %bb.13:
	v_add_nc_u32_e32 v36, 0xb4, v96
	v_add_nc_u32_e32 v40, 0x195, v96
	;; [unrolled: 1-line block ×5, first 2 shown]
	v_mad_u64_u32 v[14:15], null, s2, v36, 0
	v_mad_u64_u32 v[16:17], null, s2, v40, 0
	;; [unrolled: 1-line block ×4, first 2 shown]
	v_add_nc_u32_e32 v69, 0x7bc, v96
	v_mad_u64_u32 v[46:47], null, s3, v36, v[15:16]
	v_mov_b32_e32 v15, v33
	s_waitcnt vmcnt(0)
	v_mad_u64_u32 v[56:57], null, s3, v40, v[17:18]
	v_mov_b32_e32 v33, v45
	v_add_nc_u32_e32 v40, 0x438, v96
	v_mad_u64_u32 v[57:58], null, s3, v58, v[15:16]
	v_mov_b32_e32 v15, v46
	v_mad_u64_u32 v[45:46], null, s3, v59, v[33:34]
	v_mad_u64_u32 v[46:47], null, s2, v40, 0
	v_mov_b32_e32 v17, v56
	v_mov_b32_e32 v33, v57
	v_mad_u64_u32 v[64:65], null, s2, v69, 0
	v_lshlrev_b64 v[14:15], 3, v[14:15]
	v_lshlrev_b64 v[16:17], 3, v[16:17]
	v_mov_b32_e32 v36, v47
	v_lshlrev_b64 v[32:33], 3, v[32:33]
	v_lshlrev_b64 v[44:45], 3, v[44:45]
	v_add_co_u32 v14, s0, v37, v14
	v_mad_u64_u32 v[56:57], null, s3, v40, v[36:37]
	v_mad_u64_u32 v[57:58], null, s2, v61, 0
	v_add_nc_u32_e32 v40, 0x5fa, v96
	v_add_co_ci_u32_e64 v15, s0, v41, v15, s0
	v_add_co_u32 v16, s0, v37, v16
	v_mov_b32_e32 v47, v56
	v_mov_b32_e32 v36, v58
	v_add_nc_u32_e32 v56, 0x6db, v96
	v_mad_u64_u32 v[59:60], null, s2, v40, 0
	v_add_co_ci_u32_e64 v17, s0, v41, v17, s0
	v_mad_u64_u32 v[61:62], null, s3, v61, v[36:37]
	v_mad_u64_u32 v[62:63], null, s2, v56, 0
	v_mov_b32_e32 v36, v60
	v_add_co_u32 v32, s0, v37, v32
	v_lshlrev_b64 v[46:47], 3, v[46:47]
	v_mov_b32_e32 v58, v61
	v_mad_u64_u32 v[60:61], null, s3, v40, v[36:37]
	v_mov_b32_e32 v36, v63
	v_add_nc_u32_e32 v40, 0x89d, v96
	v_add_co_ci_u32_e64 v33, s0, v41, v33, s0
	v_add_co_u32 v44, s0, v37, v44
	v_mad_u64_u32 v[66:67], null, s3, v56, v[36:37]
	v_mad_u64_u32 v[67:68], null, s2, v40, 0
	v_mov_b32_e32 v36, v65
	v_lshlrev_b64 v[56:57], 3, v[57:58]
	v_lshlrev_b64 v[58:59], 3, v[59:60]
	v_add_co_ci_u32_e64 v45, s0, v41, v45, s0
	v_mov_b32_e32 v63, v66
	v_mad_u64_u32 v[65:66], null, s3, v69, v[36:37]
	v_mov_b32_e32 v36, v68
	v_add_co_u32 v46, s0, v37, v46
	v_add_co_ci_u32_e64 v47, s0, v41, v47, s0
	v_mad_u64_u32 v[60:61], null, s3, v40, v[36:37]
	v_add_co_u32 v56, s0, v37, v56
	v_lshlrev_b64 v[61:62], 3, v[62:63]
	v_add_co_ci_u32_e64 v57, s0, v41, v57, s0
	v_add_co_u32 v58, s0, v37, v58
	v_mov_b32_e32 v68, v60
	v_lshlrev_b64 v[63:64], 3, v[64:65]
	v_add_co_ci_u32_e64 v59, s0, v41, v59, s0
	v_add_co_u32 v65, s0, v37, v61
	v_lshlrev_b64 v[60:61], 3, v[67:68]
	v_add_co_ci_u32_e64 v66, s0, v41, v62, s0
	v_add_co_u32 v62, s0, v37, v63
	v_add_co_ci_u32_e64 v63, s0, v41, v64, s0
	v_add_co_u32 v67, s0, v37, v60
	s_clause 0x3
	global_load_dwordx2 v[14:15], v[14:15], off
	global_load_dwordx2 v[16:17], v[16:17], off
	;; [unrolled: 1-line block ×4, first 2 shown]
	v_add_co_ci_u32_e64 v68, s0, v41, v61, s0
	s_clause 0x5
	global_load_dwordx2 v[36:37], v[46:47], off
	global_load_dwordx2 v[60:61], v[56:57], off
	;; [unrolled: 1-line block ×6, first 2 shown]
.LBB0_14:
	s_or_b32 exec_lo, exec_lo, s4
	v_mov_b32_e32 v97, v90
.LBB0_15:
	s_or_b32 exec_lo, exec_lo, s1
	s_waitcnt vmcnt(13)
	v_add_f32_e32 v62, v50, v52
	s_waitcnt vmcnt(11)
	v_add_f32_e32 v63, v54, v6
	v_add_f32_e32 v64, v6, v2
	v_sub_f32_e32 v65, v53, v51
	v_sub_f32_e32 v66, v50, v54
	v_fma_f32 v70, -0.5, v62, v2
	v_fmac_f32_e32 v2, -0.5, v63
	v_sub_f32_e32 v62, v7, v55
	v_sub_f32_e32 v63, v52, v6
	;; [unrolled: 1-line block ×4, first 2 shown]
	v_fmamk_f32 v68, v65, 0x3f737871, v2
	v_fmac_f32_e32 v2, 0xbf737871, v65
	v_add_f32_e32 v63, v66, v63
	v_add_f32_e32 v66, v42, v48
	s_waitcnt vmcnt(10)
	v_add_f32_e32 v72, v38, v8
	v_fmac_f32_e32 v68, 0xbf167918, v62
	v_fmac_f32_e32 v2, 0x3f167918, v62
	v_add_f32_e32 v71, v8, v4
	v_add_f32_e32 v67, v69, v67
	v_fma_f32 v98, -0.5, v66, v4
	v_fmac_f32_e32 v68, 0x3e9e377a, v63
	v_sub_f32_e32 v66, v49, v43
	v_fmac_f32_e32 v4, -0.5, v72
	v_fmac_f32_e32 v2, 0x3e9e377a, v63
	v_sub_f32_e32 v63, v48, v8
	v_sub_f32_e32 v69, v42, v38
	;; [unrolled: 1-line block ×4, first 2 shown]
	v_add_f32_e32 v75, v39, v9
	v_sub_f32_e32 v77, v8, v38
	v_add_f32_e32 v8, v43, v49
	v_sub_f32_e32 v72, v9, v39
	v_fmamk_f32 v99, v66, 0x3f737871, v4
	v_fmac_f32_e32 v4, 0xbf737871, v66
	v_add_f32_e32 v63, v69, v63
	v_add_f32_e32 v69, v74, v73
	v_fma_f32 v100, -0.5, v75, v5
	v_sub_f32_e32 v73, v48, v42
	v_fma_f32 v8, -0.5, v8, v5
	v_fmac_f32_e32 v99, 0xbf167918, v72
	v_fmac_f32_e32 v4, 0x3f167918, v72
	v_sub_f32_e32 v74, v9, v49
	v_sub_f32_e32 v75, v49, v9
	;; [unrolled: 1-line block ×3, first 2 shown]
	v_fmamk_f32 v101, v73, 0xbf737871, v100
	v_fmac_f32_e32 v100, 0x3f737871, v73
	v_sub_f32_e32 v78, v39, v43
	v_fmamk_f32 v102, v77, 0x3f737871, v8
	v_fmac_f32_e32 v8, 0xbf737871, v77
	v_fmac_f32_e32 v99, 0x3e9e377a, v63
	v_add_f32_e32 v75, v76, v75
	v_fmac_f32_e32 v101, 0x3f167918, v77
	v_fmac_f32_e32 v100, 0xbf167918, v77
	;; [unrolled: 1-line block ×3, first 2 shown]
	v_add_f32_e32 v63, v78, v74
	v_fmamk_f32 v103, v72, 0xbf737871, v98
	v_fmac_f32_e32 v102, 0x3f167918, v73
	v_fmac_f32_e32 v98, 0x3f737871, v72
	;; [unrolled: 1-line block ×5, first 2 shown]
	v_add_f32_e32 v64, v52, v64
	v_fmamk_f32 v74, v62, 0xbf737871, v70
	v_add_f32_e32 v48, v48, v71
	v_fmac_f32_e32 v103, 0xbf167918, v66
	v_fmac_f32_e32 v102, 0x3e9e377a, v63
	v_fmac_f32_e32 v70, 0x3f737871, v62
	v_fmac_f32_e32 v98, 0x3f167918, v66
	v_fmac_f32_e32 v8, 0x3e9e377a, v63
	v_add_f32_e32 v64, v50, v64
	v_fmac_f32_e32 v74, 0xbf167918, v65
	v_add_f32_e32 v42, v42, v48
	v_fmac_f32_e32 v103, 0x3e9e377a, v69
	v_mul_f32_e32 v71, 0xbf167918, v102
	v_mul_f32_e32 v75, 0xbf737871, v101
	;; [unrolled: 1-line block ×3, first 2 shown]
	v_fmac_f32_e32 v70, 0x3f167918, v65
	v_fmac_f32_e32 v98, 0x3e9e377a, v69
	v_mul_f32_e32 v72, 0xbf167918, v8
	v_add_f32_e32 v48, v54, v64
	v_fmac_f32_e32 v74, 0x3e9e377a, v67
	v_add_f32_e32 v38, v38, v42
	v_fmac_f32_e32 v71, 0x3f4f1bbd, v103
	v_fmac_f32_e32 v75, 0x3e9e377a, v99
	v_fmac_f32_e32 v76, 0xbe9e377a, v4
	v_mul_u32_u24_e32 v42, 10, v96
	v_fmac_f32_e32 v70, 0x3e9e377a, v67
	v_fmac_f32_e32 v72, 0xbf4f1bbd, v98
	v_add_f32_e32 v62, v38, v48
	v_add_f32_e32 v63, v74, v71
	;; [unrolled: 1-line block ×4, first 2 shown]
	v_lshl_add_u32 v42, v42, 2, 0
	v_sub_f32_e32 v69, v48, v38
	s_waitcnt vmcnt(3)
	v_add_f32_e32 v38, v24, v30
	s_waitcnt vmcnt(1)
	v_add_f32_e32 v48, v26, v28
	v_sub_f32_e32 v66, v74, v71
	v_sub_f32_e32 v67, v68, v75
	v_add_f32_e32 v68, v70, v72
	ds_write2_b64 v42, v[62:63], v[64:65] offset1:1
	ds_write2_b64 v42, v[68:69], v[66:67] offset0:2 offset1:3
	v_add_f32_e32 v62, v28, v10
	v_fma_f32 v38, -0.5, v38, v10
	v_fmac_f32_e32 v10, -0.5, v48
	v_sub_f32_e32 v63, v31, v25
	v_sub_f32_e32 v48, v30, v28
	;; [unrolled: 1-line block ×5, first 2 shown]
	v_fmamk_f32 v65, v63, 0x3f737871, v10
	v_sub_f32_e32 v66, v29, v27
	v_sub_f32_e32 v67, v26, v24
	;; [unrolled: 1-line block ×3, first 2 shown]
	v_add_f32_e32 v48, v64, v48
	v_fmac_f32_e32 v10, 0xbf737871, v63
	v_add_f32_e32 v64, v20, v22
	s_waitcnt vmcnt(0)
	v_add_f32_e32 v70, v18, v34
	v_fmac_f32_e32 v65, 0xbf167918, v66
	v_add_f32_e32 v67, v67, v2
	v_fmac_f32_e32 v10, 0x3f167918, v66
	v_fma_f32 v2, -0.5, v64, v12
	v_add_f32_e32 v64, v34, v12
	v_fmac_f32_e32 v12, -0.5, v70
	v_sub_f32_e32 v71, v23, v21
	v_sub_f32_e32 v70, v34, v22
	;; [unrolled: 1-line block ×5, first 2 shown]
	v_add_f32_e32 v76, v19, v35
	v_add_f32_e32 v78, v21, v23
	v_fmac_f32_e32 v65, 0x3e9e377a, v48
	v_fmac_f32_e32 v10, 0x3e9e377a, v48
	v_fmamk_f32 v48, v71, 0x3f737871, v12
	v_sub_f32_e32 v74, v35, v19
	v_fmac_f32_e32 v12, 0xbf737871, v71
	v_add_f32_e32 v72, v73, v72
	v_add_f32_e32 v73, v75, v70
	v_fma_f32 v105, -0.5, v76, v13
	v_sub_f32_e32 v70, v22, v20
	v_sub_f32_e32 v34, v34, v18
	v_fma_f32 v106, -0.5, v78, v13
	v_fmac_f32_e32 v48, 0xbf167918, v74
	v_fmac_f32_e32 v12, 0x3f167918, v74
	v_sub_f32_e32 v75, v35, v23
	v_sub_f32_e32 v76, v23, v35
	;; [unrolled: 1-line block ×3, first 2 shown]
	v_fmamk_f32 v104, v70, 0xbf737871, v105
	v_fmac_f32_e32 v105, 0x3f737871, v70
	v_sub_f32_e32 v79, v19, v21
	v_fmamk_f32 v107, v34, 0x3f737871, v106
	v_fmac_f32_e32 v48, 0x3e9e377a, v72
	v_add_f32_e32 v76, v77, v76
	v_fmac_f32_e32 v105, 0xbf167918, v34
	v_fmac_f32_e32 v12, 0x3e9e377a, v72
	v_add_f32_e32 v72, v79, v75
	v_add_f32_e32 v62, v30, v62
	v_fmamk_f32 v108, v74, 0xbf737871, v2
	v_fmac_f32_e32 v107, 0x3f167918, v70
	v_fmac_f32_e32 v106, 0xbf737871, v34
	;; [unrolled: 1-line block ×4, first 2 shown]
	v_fmamk_f32 v75, v66, 0xbf737871, v38
	v_add_f32_e32 v22, v22, v64
	v_add_f32_e32 v62, v24, v62
	v_fmac_f32_e32 v108, 0xbf167918, v71
	v_fmac_f32_e32 v107, 0x3e9e377a, v72
	;; [unrolled: 1-line block ×6, first 2 shown]
	v_add_f32_e32 v20, v20, v22
	v_add_f32_e32 v22, v26, v62
	v_fmac_f32_e32 v108, 0x3e9e377a, v73
	v_mul_f32_e32 v62, 0xbf167918, v107
	v_mul_f32_e32 v78, 0xbf737871, v105
	v_fmac_f32_e32 v38, 0x3f737871, v66
	v_fmac_f32_e32 v2, 0x3f167918, v71
	;; [unrolled: 1-line block ×4, first 2 shown]
	v_mul_f32_e32 v64, 0xbf737871, v104
	v_add_f32_e32 v20, v18, v20
	v_fmac_f32_e32 v62, 0x3f4f1bbd, v108
	v_fmac_f32_e32 v78, 0xbe9e377a, v12
	;; [unrolled: 1-line block ×4, first 2 shown]
	v_mul_f32_e32 v34, 0xbf167918, v106
	v_fmac_f32_e32 v64, 0x3e9e377a, v48
	v_add_f32_e32 v70, v20, v22
	v_add_f32_e32 v71, v75, v62
	;; [unrolled: 1-line block ×3, first 2 shown]
	v_fmac_f32_e32 v38, 0x3e9e377a, v67
	v_fmac_f32_e32 v34, 0xbf4f1bbd, v2
	v_sub_f32_e32 v74, v75, v62
	v_add_f32_e32 v62, v40, v36
	v_sub_f32_e32 v77, v22, v20
	v_sub_f32_e32 v20, v32, v36
	;; [unrolled: 1-line block ×4, first 2 shown]
	v_add_f32_e32 v10, v56, v60
	v_add_f32_e32 v72, v65, v64
	v_sub_f32_e32 v75, v65, v64
	v_add_f32_e32 v76, v38, v34
	v_sub_f32_e32 v79, v38, v34
	v_fma_f32 v65, -0.5, v62, v14
	v_sub_f32_e32 v34, v33, v47
	v_add_f32_e32 v20, v22, v20
	v_fma_f32 v109, -0.5, v10, v16
	v_sub_f32_e32 v22, v45, v59
	v_sub_f32_e32 v10, v44, v60
	;; [unrolled: 1-line block ×3, first 2 shown]
	v_fmamk_f32 v38, v34, 0xbf737871, v65
	v_sub_f32_e32 v66, v37, v41
	v_fmac_f32_e32 v65, 0x3f737871, v34
	v_fmamk_f32 v110, v22, 0xbf737871, v109
	v_sub_f32_e32 v63, v61, v57
	v_add_f32_e32 v10, v62, v10
	v_add_f32_e32 v62, v58, v44
	v_fmac_f32_e32 v109, 0x3f737871, v22
	v_fmac_f32_e32 v38, 0xbf167918, v66
	;; [unrolled: 1-line block ×4, first 2 shown]
	v_add_f32_e32 v64, v44, v16
	v_fmac_f32_e32 v16, -0.5, v62
	v_fmac_f32_e32 v109, 0x3f167918, v63
	v_add_f32_e32 v67, v57, v61
	v_fmac_f32_e32 v38, 0x3e9e377a, v20
	v_fmac_f32_e32 v65, 0x3e9e377a, v20
	;; [unrolled: 1-line block ×3, first 2 shown]
	v_sub_f32_e32 v20, v60, v44
	v_sub_f32_e32 v62, v56, v58
	v_fmac_f32_e32 v109, 0x3e9e377a, v10
	v_fmamk_f32 v10, v63, 0x3f737871, v16
	v_fmac_f32_e32 v16, 0xbf737871, v63
	v_fma_f32 v111, -0.5, v67, v17
	v_sub_f32_e32 v63, v44, v58
	v_add_f32_e32 v80, v59, v45
	v_add_f32_e32 v62, v62, v20
	v_fmac_f32_e32 v10, 0xbf167918, v22
	v_sub_f32_e32 v20, v45, v61
	v_sub_f32_e32 v67, v59, v57
	v_fmamk_f32 v44, v63, 0x3f737871, v111
	v_sub_f32_e32 v81, v60, v56
	v_fmac_f32_e32 v16, 0x3f167918, v22
	v_fma_f32 v22, -0.5, v80, v17
	v_fmac_f32_e32 v111, 0xbf737871, v63
	v_add_f32_e32 v67, v67, v20
	v_fmac_f32_e32 v44, 0x3f167918, v81
	v_add_f32_e32 v83, v32, v14
	v_fmamk_f32 v20, v81, 0xbf737871, v22
	v_fmac_f32_e32 v22, 0x3f737871, v81
	v_fmac_f32_e32 v111, 0xbf167918, v81
	v_add_f32_e32 v60, v60, v64
	v_fmac_f32_e32 v44, 0x3e9e377a, v67
	v_fmac_f32_e32 v20, 0x3f167918, v63
	;; [unrolled: 1-line block ×3, first 2 shown]
	v_add_f32_e32 v63, v36, v83
	v_fmac_f32_e32 v111, 0x3e9e377a, v67
	v_sub_f32_e32 v80, v61, v45
	v_sub_f32_e32 v82, v57, v59
	v_add_f32_e32 v64, v56, v60
	v_add_f32_e32 v63, v40, v63
	v_mul_f32_e32 v67, 0xbf167918, v111
	v_mul_f32_e32 v60, 0xbf167918, v44
	v_mul_i32_i24_e32 v18, 10, v97
	v_add_f32_e32 v80, v82, v80
	v_add_f32_e32 v56, v46, v63
	v_fmac_f32_e32 v67, 0xbf4f1bbd, v109
	v_add_f32_e32 v58, v58, v64
	v_fmac_f32_e32 v60, 0x3f4f1bbd, v110
	v_lshl_add_u32 v18, v18, 2, 0
	v_fmac_f32_e32 v10, 0x3e9e377a, v62
	v_fmac_f32_e32 v16, 0x3e9e377a, v62
	;; [unrolled: 1-line block ×4, first 2 shown]
	v_add_f32_e32 v62, v65, v67
	v_sub_f32_e32 v63, v56, v58
	v_cmp_gt_u32_e64 s1, 45, v96
	v_sub_f32_e32 v64, v38, v60
	ds_write_b64 v42, v[68:69] offset:32
	ds_write2_b64 v18, v[70:71], v[72:73] offset1:1
	ds_write2_b64 v18, v[76:77], v[74:75] offset0:2 offset1:3
	ds_write_b64 v18, v[78:79] offset:32
	s_and_saveexec_b32 s0, s1
	s_cbranch_execz .LBB0_17
; %bb.16:
	v_add_f32_e32 v68, v46, v32
	v_sub_f32_e32 v67, v65, v67
	v_sub_f32_e32 v65, v36, v32
	v_mul_f32_e32 v73, 0xbf737871, v20
	v_add_f32_e32 v69, v38, v60
	v_fmac_f32_e32 v14, -0.5, v68
	v_sub_f32_e32 v68, v40, v46
	v_add_nc_u32_e32 v38, 0x1c30, v42
	v_fmac_f32_e32 v73, 0x3e9e377a, v10
	v_fmamk_f32 v72, v66, 0xbf737871, v14
	v_fmac_f32_e32 v14, 0x3f737871, v66
	v_mul_f32_e32 v66, 0xbf737871, v22
	v_add_f32_e32 v65, v68, v65
	v_add_f32_e32 v68, v58, v56
	v_fmac_f32_e32 v72, 0x3f167918, v34
	v_fmac_f32_e32 v14, 0xbf167918, v34
	;; [unrolled: 1-line block ×3, first 2 shown]
	v_add_nc_u32_e32 v34, 0x1c20, v42
	v_fmac_f32_e32 v72, 0x3e9e377a, v65
	v_fmac_f32_e32 v14, 0x3e9e377a, v65
	v_add_f32_e32 v71, v72, v66
	v_add_f32_e32 v70, v14, v73
	v_sub_f32_e32 v65, v14, v73
	v_sub_f32_e32 v66, v72, v66
	ds_write2_b64 v34, v[68:69], v[70:71] offset1:1
	ds_write2_b64 v38, v[62:63], v[64:65] offset1:1
	ds_write_b64 v42, v[66:67] offset:7232
.LBB0_17:
	s_or_b32 exec_lo, exec_lo, s0
	v_mad_i32_i24 v56, 0xffffffdc, v96, v42
	s_waitcnt lgkmcnt(0)
	s_barrier
	buffer_gl0_inv
	v_cmp_gt_u32_e64 s0, 30, v96
	v_add_nc_u32_e32 v14, 0x800, v56
	v_add_nc_u32_e32 v34, 0x1400, v56
	v_add_nc_u32_e32 v38, 0xc00, v56
	v_add_nc_u32_e32 v58, 0x1800, v56
	v_add_nc_u32_e32 v60, 0x400, v56
	ds_read2_b32 v[65:66], v56 offset1:180
	ds_read2_b32 v[67:68], v14 offset0:118 offset1:238
	ds_read2_b32 v[73:74], v34 offset0:100 offset1:220
	v_add_nc_u32_e32 v34, 0xe00, v56
	ds_read2_b32 v[83:84], v38 offset0:72 offset1:162
	ds_read2_b32 v[79:80], v58 offset0:54 offset1:144
	;; [unrolled: 1-line block ×3, first 2 shown]
	v_add_nc_u32_e32 v38, 0x1a00, v56
	v_add_nc_u32_e32 v58, 0x600, v56
	;; [unrolled: 1-line block ×4, first 2 shown]
	v_mad_i32_i24 v14, 0xffffffdc, v97, v18
	ds_read2_b32 v[85:86], v34 offset0:124 offset1:214
	ds_read2_b32 v[81:82], v38 offset0:106 offset1:196
	;; [unrolled: 1-line block ×5, first 2 shown]
	ds_read_b32 v34, v14
	ds_read_b32 v38, v56 offset:8520
	s_and_saveexec_b32 s4, s0
	s_cbranch_execz .LBB0_19
; %bb.18:
	ds_read_b32 v62, v56 offset:2880
	ds_read_b32 v63, v56 offset:5880
	;; [unrolled: 1-line block ×3, first 2 shown]
.LBB0_19:
	s_or_b32 exec_lo, exec_lo, s4
	v_add_f32_e32 v14, v7, v3
	v_add_f32_e32 v58, v51, v53
	;; [unrolled: 1-line block ×3, first 2 shown]
	v_sub_f32_e32 v52, v52, v50
	v_add_f32_e32 v5, v9, v5
	v_add_f32_e32 v14, v53, v14
	v_fma_f32 v58, -0.5, v58, v3
	v_fmac_f32_e32 v3, -0.5, v112
	v_sub_f32_e32 v6, v6, v54
	v_sub_f32_e32 v54, v7, v53
	v_sub_f32_e32 v60, v55, v51
	v_add_f32_e32 v14, v51, v14
	v_fmamk_f32 v9, v52, 0xbf737871, v3
	v_sub_f32_e32 v7, v53, v7
	v_sub_f32_e32 v51, v51, v55
	v_add_f32_e32 v5, v49, v5
	v_fmac_f32_e32 v3, 0x3f737871, v52
	v_fmac_f32_e32 v9, 0x3f167918, v6
	v_fmamk_f32 v113, v6, 0x3f737871, v58
	v_add_f32_e32 v7, v51, v7
	v_add_f32_e32 v5, v43, v5
	v_fmac_f32_e32 v3, 0xbf167918, v6
	v_fmac_f32_e32 v58, 0xbf737871, v6
	v_add_f32_e32 v54, v60, v54
	v_fmac_f32_e32 v9, 0x3e9e377a, v7
	v_add_f32_e32 v5, v39, v5
	v_mul_f32_e32 v39, 0x3f737871, v99
	v_fmac_f32_e32 v3, 0x3e9e377a, v7
	v_mul_f32_e32 v7, 0x3e9e377a, v100
	v_add_f32_e32 v14, v55, v14
	v_fmac_f32_e32 v113, 0x3f167918, v52
	v_fmac_f32_e32 v58, 0xbf167918, v52
	v_mul_f32_e32 v6, 0x3f167918, v103
	v_fmac_f32_e32 v39, 0x3e9e377a, v101
	v_fma_f32 v4, 0x3f737871, v4, -v7
	v_add_f32_e32 v43, v29, v11
	v_fmac_f32_e32 v113, 0x3e9e377a, v54
	v_fmac_f32_e32 v58, 0x3e9e377a, v54
	;; [unrolled: 1-line block ×3, first 2 shown]
	v_add_f32_e32 v51, v5, v14
	v_mul_f32_e32 v8, 0x3f4f1bbd, v8
	v_add_f32_e32 v7, v25, v31
	v_add_f32_e32 v53, v9, v39
	;; [unrolled: 1-line block ×3, first 2 shown]
	v_sub_f32_e32 v99, v14, v5
	v_add_f32_e32 v5, v31, v43
	v_sub_f32_e32 v101, v9, v39
	v_add_f32_e32 v9, v27, v29
	;; [unrolled: 2-line block ×3, first 2 shown]
	v_add_f32_e32 v52, v113, v6
	v_fma_f32 v8, 0x3f167918, v98, -v8
	v_fma_f32 v49, -0.5, v7, v11
	v_sub_f32_e32 v7, v28, v26
	v_sub_f32_e32 v100, v113, v6
	;; [unrolled: 1-line block ×3, first 2 shown]
	v_add_f32_e32 v5, v25, v5
	v_fmac_f32_e32 v11, -0.5, v9
	v_add_f32_e32 v4, v23, v4
	v_add_f32_e32 v98, v58, v8
	v_fmamk_f32 v14, v7, 0x3f737871, v49
	v_sub_f32_e32 v103, v58, v8
	v_add_f32_e32 v3, v27, v5
	v_fmac_f32_e32 v49, 0xbf737871, v7
	v_fmamk_f32 v5, v6, 0xbf737871, v11
	v_sub_f32_e32 v8, v31, v29
	v_sub_f32_e32 v9, v25, v27
	v_fmac_f32_e32 v11, 0x3f737871, v6
	v_add_f32_e32 v4, v21, v4
	v_fmac_f32_e32 v14, 0x3f167918, v6
	v_fmac_f32_e32 v49, 0xbf167918, v6
	;; [unrolled: 1-line block ×3, first 2 shown]
	v_add_f32_e32 v6, v9, v8
	v_fmac_f32_e32 v11, 0xbf167918, v7
	v_add_f32_e32 v8, v19, v4
	v_mul_f32_e32 v4, 0x3e9e377a, v105
	v_sub_f32_e32 v24, v29, v31
	v_sub_f32_e32 v26, v27, v25
	v_fmac_f32_e32 v5, 0x3e9e377a, v6
	v_fmac_f32_e32 v11, 0x3e9e377a, v6
	v_mul_f32_e32 v6, 0x3f4f1bbd, v106
	v_fma_f32 v12, 0x3f737871, v12, -v4
	v_add_f32_e32 v4, v33, v15
	v_add_f32_e32 v24, v26, v24
	v_mul_f32_e32 v7, 0x3f167918, v108
	v_mul_f32_e32 v9, 0x3f737871, v48
	v_fma_f32 v2, 0x3f167918, v2, -v6
	v_add_f32_e32 v6, v41, v37
	v_add_f32_e32 v13, v37, v4
	v_fmac_f32_e32 v14, 0x3e9e377a, v24
	v_fmac_f32_e32 v7, 0x3f4f1bbd, v107
	v_add_f32_e32 v23, v8, v3
	v_fmac_f32_e32 v9, 0x3e9e377a, v104
	v_fma_f32 v4, -0.5, v6, v15
	v_sub_f32_e32 v6, v32, v46
	v_sub_f32_e32 v28, v3, v8
	v_add_f32_e32 v3, v41, v13
	v_add_f32_e32 v8, v45, v17
	v_fmac_f32_e32 v49, 0x3e9e377a, v24
	v_add_f32_e32 v24, v14, v7
	v_add_f32_e32 v25, v5, v9
	v_sub_f32_e32 v29, v14, v7
	v_sub_f32_e32 v30, v5, v9
	v_fmamk_f32 v5, v6, 0x3f737871, v4
	v_sub_f32_e32 v7, v36, v40
	v_sub_f32_e32 v9, v33, v37
	;; [unrolled: 1-line block ×3, first 2 shown]
	v_fmac_f32_e32 v4, 0xbf737871, v6
	v_add_f32_e32 v13, v47, v3
	v_add_f32_e32 v3, v61, v8
	v_fmac_f32_e32 v5, 0x3f167918, v7
	v_add_f32_e32 v9, v14, v9
	v_fmac_f32_e32 v4, 0xbf167918, v7
	v_mul_f32_e32 v14, 0x3f4f1bbd, v111
	v_add_f32_e32 v3, v57, v3
	v_mul_f32_e32 v8, 0x3f167918, v110
	v_fmac_f32_e32 v5, 0x3e9e377a, v9
	v_fmac_f32_e32 v4, 0x3e9e377a, v9
	v_fma_f32 v9, 0x3f167918, v109, -v14
	v_add_f32_e32 v14, v59, v3
	v_fmac_f32_e32 v8, 0x3f4f1bbd, v44
	v_mul_i32_i24_e32 v50, 0xffffffdc, v97
	v_add_f32_e32 v26, v11, v12
	v_add_f32_e32 v27, v49, v2
	v_sub_f32_e32 v31, v11, v12
	v_sub_f32_e32 v32, v49, v2
	v_add_f32_e32 v2, v4, v9
	v_sub_f32_e32 v3, v13, v14
	v_sub_f32_e32 v12, v5, v8
	v_add_nc_u32_e32 v48, 0xb4, v96
	s_waitcnt lgkmcnt(0)
	s_barrier
	buffer_gl0_inv
	ds_write2_b64 v42, v[51:52], v[53:54] offset1:1
	ds_write2_b64 v42, v[98:99], v[100:101] offset0:2 offset1:3
	ds_write_b64 v42, v[102:103] offset:32
	ds_write2_b64 v18, v[23:24], v[25:26] offset1:1
	ds_write2_b64 v18, v[27:28], v[29:30] offset0:2 offset1:3
	ds_write_b64 v18, v[31:32] offset:32
	s_and_saveexec_b32 s4, s1
	s_cbranch_execz .LBB0_21
; %bb.20:
	v_add_f32_e32 v11, v47, v33
	v_sub_f32_e32 v17, v41, v47
	v_add_f32_e32 v19, v14, v13
	v_mul_f32_e32 v10, 0x3f737871, v10
	v_fmac_f32_e32 v15, -0.5, v11
	v_sub_f32_e32 v11, v37, v33
	v_fmac_f32_e32 v10, 0x3e9e377a, v20
	v_add_f32_e32 v20, v5, v8
	v_fmamk_f32 v13, v7, 0xbf737871, v15
	v_fmac_f32_e32 v15, 0x3f737871, v7
	v_mul_f32_e32 v7, 0x3e9e377a, v22
	v_add_f32_e32 v11, v17, v11
	v_sub_f32_e32 v5, v4, v9
	v_fmac_f32_e32 v13, 0x3f167918, v6
	v_fmac_f32_e32 v15, 0xbf167918, v6
	v_mul_u32_u24_e32 v6, 10, v48
	v_fma_f32 v14, 0x3f737871, v16, -v7
	v_fmac_f32_e32 v13, 0x3e9e377a, v11
	v_fmac_f32_e32 v15, 0x3e9e377a, v11
	v_lshl_add_u32 v8, v6, 2, 0
	v_add_f32_e32 v6, v13, v10
	v_add_f32_e32 v7, v15, v14
	v_sub_f32_e32 v13, v13, v10
	v_sub_f32_e32 v4, v15, v14
	ds_write2_b64 v8, v[19:20], v[6:7] offset1:1
	ds_write2_b64 v8, v[2:3], v[12:13] offset0:2 offset1:3
	ds_write_b64 v8, v[4:5] offset:32
.LBB0_21:
	s_or_b32 exec_lo, exec_lo, s4
	v_add_nc_u32_e32 v4, 0x800, v56
	v_add_nc_u32_e32 v8, 0x1400, v56
	;; [unrolled: 1-line block ×5, first 2 shown]
	s_waitcnt lgkmcnt(0)
	s_barrier
	buffer_gl0_inv
	ds_read2_b32 v[6:7], v56 offset1:180
	ds_read2_b32 v[4:5], v4 offset0:118 offset1:238
	ds_read2_b32 v[13:14], v8 offset0:100 offset1:220
	;; [unrolled: 1-line block ×5, first 2 shown]
	v_add_nc_u32_e32 v10, 0xe00, v56
	v_add_nc_u32_e32 v11, 0x1a00, v56
	;; [unrolled: 1-line block ×6, first 2 shown]
	ds_read2_b32 v[25:26], v10 offset0:124 offset1:214
	ds_read2_b32 v[21:22], v11 offset0:106 offset1:196
	;; [unrolled: 1-line block ×5, first 2 shown]
	ds_read_b32 v39, v49
	ds_read_b32 v27, v56 offset:8520
	s_and_saveexec_b32 s1, s0
	s_cbranch_execz .LBB0_23
; %bb.22:
	ds_read_b32 v2, v56 offset:2880
	ds_read_b32 v3, v56 offset:5880
	;; [unrolled: 1-line block ×3, first 2 shown]
.LBB0_23:
	s_or_b32 exec_lo, exec_lo, s1
	v_and_b32_e32 v37, 0xff, v96
	v_and_b32_e32 v36, 0xff, v97
	v_add_nc_u32_e32 v47, 0x10e, v96
	v_mov_b32_e32 v28, 0xcccd
	v_add_nc_u32_e32 v46, 0x168, v96
	v_mul_lo_u16 v29, 0xcd, v37
	v_mul_lo_u16 v30, 0xcd, v36
	v_mov_b32_e32 v32, 4
	v_mul_u32_u24_sdwa v31, v48, v28 dst_sel:DWORD dst_unused:UNUSED_PAD src0_sel:WORD_0 src1_sel:DWORD
	v_mul_u32_u24_sdwa v33, v47, v28 dst_sel:DWORD dst_unused:UNUSED_PAD src0_sel:WORD_0 src1_sel:DWORD
	v_lshrrev_b16 v29, 11, v29
	v_lshrrev_b16 v30, 11, v30
	v_add_nc_u32_e32 v50, 0x276, v96
	v_lshrrev_b32_e32 v31, 19, v31
	v_mul_u32_u24_sdwa v41, v46, v28 dst_sel:DWORD dst_unused:UNUSED_PAD src0_sel:WORD_0 src1_sel:DWORD
	v_mul_lo_u16 v35, v29, 10
	v_mul_lo_u16 v40, v30, 10
	v_lshrrev_b32_e32 v33, 19, v33
	v_mul_u32_u24_sdwa v44, v91, v28 dst_sel:DWORD dst_unused:UNUSED_PAD src0_sel:WORD_0 src1_sel:DWORD
	v_mul_u32_u24_sdwa v42, v95, v28 dst_sel:DWORD dst_unused:UNUSED_PAD src0_sel:WORD_0 src1_sel:DWORD
	v_sub_nc_u16 v35, v96, v35
	v_sub_nc_u16 v40, v97, v40
	v_mul_lo_u16 v43, v31, 10
	v_mul_lo_u16 v52, v33, 10
	v_lshrrev_b32_e32 v41, 19, v41
	v_lshlrev_b32_sdwa v45, v32, v35 dst_sel:DWORD dst_unused:UNUSED_PAD src0_sel:DWORD src1_sel:BYTE_0
	v_lshlrev_b32_sdwa v51, v32, v40 dst_sel:DWORD dst_unused:UNUSED_PAD src0_sel:DWORD src1_sel:BYTE_0
	v_lshrrev_b32_e32 v44, 19, v44
	v_mul_u32_u24_sdwa v55, v50, v28 dst_sel:DWORD dst_unused:UNUSED_PAD src0_sel:WORD_0 src1_sel:DWORD
	v_sub_nc_u16 v43, v48, v43
	s_clause 0x1
	global_load_dwordx4 v[107:110], v45, s[8:9]
	global_load_dwordx4 v[111:114], v51, s[8:9]
	v_add_nc_u32_e32 v51, 0x2d0, v96
	v_sub_nc_u16 v45, v47, v52
	v_lshrrev_b32_e32 v42, 19, v42
	v_mul_lo_u16 v52, v41, 10
	v_mul_lo_u16 v58, v44, 10
	v_mul_u32_u24_sdwa v28, v51, v28 dst_sel:DWORD dst_unused:UNUSED_PAD src0_sel:WORD_0 src1_sel:DWORD
	v_lshrrev_b32_e32 v55, 19, v55
	v_lshlrev_b32_sdwa v53, v32, v43 dst_sel:DWORD dst_unused:UNUSED_PAD src0_sel:DWORD src1_sel:WORD_0
	v_sub_nc_u16 v52, v46, v52
	v_mul_lo_u16 v57, v42, 10
	v_lshrrev_b32_e32 v59, 19, v28
	v_mul_lo_u16 v28, v55, 10
	v_sub_nc_u16 v58, v91, v58
	v_lshlrev_b32_sdwa v54, v32, v45 dst_sel:DWORD dst_unused:UNUSED_PAD src0_sel:DWORD src1_sel:WORD_0
	s_clause 0x1
	global_load_dwordx4 v[115:118], v53, s[8:9]
	global_load_dwordx4 v[119:122], v54, s[8:9]
	v_sub_nc_u16 v53, v95, v57
	v_lshlrev_b32_sdwa v54, v32, v52 dst_sel:DWORD dst_unused:UNUSED_PAD src0_sel:DWORD src1_sel:WORD_0
	v_sub_nc_u16 v60, v50, v28
	v_lshlrev_b32_sdwa v28, v32, v58 dst_sel:DWORD dst_unused:UNUSED_PAD src0_sel:DWORD src1_sel:WORD_0
	v_mul_u32_u24_e32 v31, 0x78, v31
	v_lshlrev_b32_sdwa v57, v32, v53 dst_sel:DWORD dst_unused:UNUSED_PAD src0_sel:DWORD src1_sel:WORD_0
	s_clause 0x1
	global_load_dwordx4 v[123:126], v54, s[8:9]
	global_load_dwordx4 v[131:134], v28, s[8:9]
	v_mul_lo_u16 v54, v59, 10
	global_load_dwordx4 v[127:130], v57, s[8:9]
	v_mul_lo_u16 v59, v59, 30
	v_sub_nc_u16 v57, v51, v54
	v_lshlrev_b32_sdwa v54, v32, v60 dst_sel:DWORD dst_unused:UNUSED_PAD src0_sel:DWORD src1_sel:WORD_0
	v_lshlrev_b32_sdwa v28, v32, v57 dst_sel:DWORD dst_unused:UNUSED_PAD src0_sel:DWORD src1_sel:WORD_0
	s_clause 0x1
	global_load_dwordx4 v[135:138], v54, s[8:9]
	global_load_dwordx4 v[139:142], v28, s[8:9]
	v_mov_b32_e32 v32, 0x78
	v_mov_b32_e32 v28, 2
	s_waitcnt vmcnt(0) lgkmcnt(0)
	s_barrier
	buffer_gl0_inv
	v_mul_u32_u24_sdwa v29, v29, v32 dst_sel:DWORD dst_unused:UNUSED_PAD src0_sel:WORD_0 src1_sel:DWORD
	v_mul_u32_u24_sdwa v30, v30, v32 dst_sel:DWORD dst_unused:UNUSED_PAD src0_sel:WORD_0 src1_sel:DWORD
	v_mul_u32_u24_e32 v32, 0x78, v33
	v_mul_u32_u24_e32 v33, 0x78, v41
	;; [unrolled: 1-line block ×5, first 2 shown]
	v_lshlrev_b32_sdwa v52, v28, v52 dst_sel:DWORD dst_unused:UNUSED_PAD src0_sel:DWORD src1_sel:WORD_0
	v_lshlrev_b32_sdwa v55, v28, v60 dst_sel:DWORD dst_unused:UNUSED_PAD src0_sel:DWORD src1_sel:WORD_0
	v_lshlrev_b32_sdwa v35, v28, v35 dst_sel:DWORD dst_unused:UNUSED_PAD src0_sel:DWORD src1_sel:BYTE_0
	v_lshlrev_b32_sdwa v43, v28, v43 dst_sel:DWORD dst_unused:UNUSED_PAD src0_sel:DWORD src1_sel:WORD_0
	v_lshlrev_b32_sdwa v45, v28, v45 dst_sel:DWORD dst_unused:UNUSED_PAD src0_sel:DWORD src1_sel:WORD_0
	v_add3_u32 v99, 0, v33, v52
	v_add3_u32 v60, 0, v44, v55
	v_lshlrev_b32_sdwa v40, v28, v40 dst_sel:DWORD dst_unused:UNUSED_PAD src0_sel:DWORD src1_sel:BYTE_0
	v_lshlrev_b32_sdwa v53, v28, v53 dst_sel:DWORD dst_unused:UNUSED_PAD src0_sel:DWORD src1_sel:WORD_0
	v_lshlrev_b32_sdwa v54, v28, v58 dst_sel:DWORD dst_unused:UNUSED_PAD src0_sel:DWORD src1_sel:WORD_0
	v_add3_u32 v103, 0, v29, v35
	v_add3_u32 v101, 0, v31, v43
	;; [unrolled: 1-line block ×6, first 2 shown]
	v_mul_f32_e32 v104, v5, v108
	v_mul_f32_e32 v52, v68, v108
	;; [unrolled: 1-line block ×7, first 2 shown]
	v_fmac_f32_e32 v55, v83, v111
	v_fma_f32 v83, v19, v113, -v108
	v_mul_f32_e32 v53, v74, v110
	v_fma_f32 v106, v23, v111, -v106
	v_fmac_f32_e32 v58, v79, v113
	v_fmac_f32_e32 v104, v68, v107
	v_fmac_f32_e32 v105, v74, v109
	v_fma_f32 v74, v14, v109, -v53
	v_mul_f32_e32 v31, v24, v116
	v_mul_f32_e32 v45, v20, v118
	;; [unrolled: 1-line block ×20, first 2 shown]
	v_fmac_f32_e32 v31, v84, v115
	v_fmac_f32_e32 v45, v80, v117
	v_fma_f32 v80, v5, v107, -v52
	v_fmac_f32_e32 v44, v85, v119
	v_mul_f32_e32 v29, v13, v136
	v_mul_f32_e32 v35, v3, v140
	;; [unrolled: 1-line block ×8, first 2 shown]
	v_fmac_f32_e32 v35, v63, v139
	v_fmac_f32_e32 v19, v64, v141
	v_fma_f32 v68, v25, v119, -v114
	v_fmac_f32_e32 v54, v81, v121
	v_fma_f32 v25, v21, v121, -v116
	v_fmac_f32_e32 v32, v86, v123
	v_fmac_f32_e32 v40, v82, v125
	;; [unrolled: 1-line block ×3, first 2 shown]
	v_fma_f32 v21, v17, v127, -v122
	v_fmac_f32_e32 v42, v75, v129
	v_fma_f32 v17, v15, v129, -v124
	v_fmac_f32_e32 v30, v78, v131
	v_fmac_f32_e32 v43, v76, v133
	v_fma_f32 v15, v16, v133, -v128
	v_fmac_f32_e32 v29, v73, v135
	v_fma_f32 v14, v13, v135, -v130
	;; [unrolled: 2-line block ×3, first 2 shown]
	v_fma_f32 v13, v3, v139, -v108
	v_fma_f32 v12, v12, v141, -v111
	v_add_f32_e32 v16, v104, v105
	v_add_f32_e32 v27, v55, v58
	v_add_f32_e32 v52, v66, v31
	v_add_f32_e32 v111, v35, v19
	v_fma_f32 v79, v24, v115, -v110
	v_fma_f32 v24, v20, v117, -v112
	v_add_f32_e32 v53, v31, v45
	v_fma_f32 v23, v26, v123, -v118
	v_fma_f32 v20, v22, v125, -v120
	;; [unrolled: 1-line block ×3, first 2 shown]
	v_add_f32_e32 v3, v65, v104
	v_sub_f32_e32 v22, v80, v74
	v_add_f32_e32 v26, v34, v55
	v_add_f32_e32 v73, v44, v54
	;; [unrolled: 1-line block ×7, first 2 shown]
	v_sub_f32_e32 v112, v13, v12
	v_fma_f32 v16, -0.5, v16, v65
	v_fmac_f32_e32 v34, -0.5, v27
	v_add_f32_e32 v27, v52, v45
	v_fma_f32 v52, -0.5, v111, v62
	v_sub_f32_e32 v38, v106, v83
	v_sub_f32_e32 v63, v79, v24
	v_fmac_f32_e32 v66, -0.5, v53
	v_add_f32_e32 v64, v69, v44
	v_sub_f32_e32 v75, v68, v25
	v_add_f32_e32 v76, v70, v32
	v_sub_f32_e32 v78, v23, v20
	v_sub_f32_e32 v84, v21, v17
	v_add_f32_e32 v85, v72, v30
	v_sub_f32_e32 v107, v18, v15
	v_add_f32_e32 v108, v67, v29
	;; [unrolled: 2-line block ×3, first 2 shown]
	v_fma_f32 v65, -0.5, v73, v69
	v_fmac_f32_e32 v70, -0.5, v77
	v_add_f32_e32 v73, v81, v42
	v_fma_f32 v71, -0.5, v82, v71
	v_fmac_f32_e32 v72, -0.5, v86
	v_fmac_f32_e32 v67, -0.5, v109
	v_fmamk_f32 v81, v22, 0xbf5db3d7, v16
	v_fmamk_f32 v53, v112, 0xbf5db3d7, v52
	v_fmac_f32_e32 v52, 0x3f5db3d7, v112
	v_fmac_f32_e32 v16, 0x3f5db3d7, v22
	v_add_f32_e32 v26, v26, v58
	v_fmamk_f32 v22, v38, 0xbf5db3d7, v34
	v_fmac_f32_e32 v34, 0x3f5db3d7, v38
	v_fmamk_f32 v38, v63, 0xbf5db3d7, v66
	v_add_f32_e32 v64, v64, v54
	v_add_f32_e32 v69, v76, v40
	v_add_f32_e32 v76, v85, v43
	v_add_f32_e32 v77, v108, v33
	v_fmac_f32_e32 v66, 0x3f5db3d7, v63
	v_fmamk_f32 v63, v75, 0xbf5db3d7, v65
	v_fmac_f32_e32 v65, 0x3f5db3d7, v75
	v_fmamk_f32 v75, v78, 0xbf5db3d7, v70
	v_fmac_f32_e32 v70, 0x3f5db3d7, v78
	v_fmamk_f32 v78, v84, 0xbf5db3d7, v71
	v_fmac_f32_e32 v71, 0x3f5db3d7, v84
	v_fmamk_f32 v82, v107, 0xbf5db3d7, v72
	v_fmac_f32_e32 v72, 0x3f5db3d7, v107
	v_fmamk_f32 v84, v110, 0xbf5db3d7, v67
	v_fmac_f32_e32 v67, 0x3f5db3d7, v110
	ds_write2_b32 v103, v3, v81 offset1:10
	ds_write_b32 v103, v16 offset:80
	ds_write2_b32 v102, v26, v22 offset1:10
	ds_write_b32 v102, v34 offset:80
	;; [unrolled: 2-line block ×8, first 2 shown]
	s_and_saveexec_b32 s1, s0
	s_cbranch_execz .LBB0_25
; %bb.24:
	v_add_f32_e32 v3, v62, v35
	v_lshlrev_b32_sdwa v16, v28, v57 dst_sel:DWORD dst_unused:UNUSED_PAD src0_sel:DWORD src1_sel:WORD_0
	v_lshlrev_b32_sdwa v22, v28, v59 dst_sel:DWORD dst_unused:UNUSED_PAD src0_sel:DWORD src1_sel:WORD_0
	v_add_f32_e32 v3, v3, v19
	v_add3_u32 v16, 0, v16, v22
	ds_write2_b32 v16, v3, v53 offset1:10
	ds_write_b32 v16, v52 offset:80
.LBB0_25:
	s_or_b32 exec_lo, exec_lo, s1
	v_add_f32_e32 v3, v80, v74
	v_add_f32_e32 v16, v6, v80
	;; [unrolled: 1-line block ×3, first 2 shown]
	v_sub_f32_e32 v22, v104, v105
	v_add_nc_u32_e32 v38, 0x600, v56
	v_fma_f32 v64, -0.5, v3, v6
	v_add_f32_e32 v3, v39, v106
	v_sub_f32_e32 v6, v55, v58
	v_add_f32_e32 v65, v16, v74
	v_fmac_f32_e32 v39, -0.5, v26
	v_add_f32_e32 v16, v7, v79
	v_add_f32_e32 v67, v3, v83
	;; [unrolled: 1-line block ×3, first 2 shown]
	v_add_nc_u32_e32 v62, 0x1600, v56
	v_fmamk_f32 v69, v6, 0x3f5db3d7, v39
	v_fmac_f32_e32 v39, 0xbf5db3d7, v6
	v_add_f32_e32 v6, v68, v25
	v_fmac_f32_e32 v7, -0.5, v3
	v_sub_f32_e32 v3, v31, v45
	v_add_f32_e32 v70, v16, v24
	v_add_f32_e32 v16, v8, v68
	v_fma_f32 v68, -0.5, v6, v8
	v_sub_f32_e32 v6, v44, v54
	v_fmamk_f32 v71, v3, 0x3f5db3d7, v7
	v_fmac_f32_e32 v7, 0xbf5db3d7, v3
	v_add_f32_e32 v3, v23, v20
	v_add_f32_e32 v8, v9, v23
	v_fmamk_f32 v73, v6, 0x3f5db3d7, v68
	v_fmac_f32_e32 v68, 0xbf5db3d7, v6
	v_add_f32_e32 v6, v21, v17
	v_fmac_f32_e32 v9, -0.5, v3
	v_sub_f32_e32 v3, v32, v40
	v_add_f32_e32 v74, v8, v20
	v_add_f32_e32 v8, v10, v21
	v_fma_f32 v10, -0.5, v6, v10
	v_sub_f32_e32 v6, v41, v42
	v_fmamk_f32 v75, v3, 0x3f5db3d7, v9
	v_fmac_f32_e32 v9, 0xbf5db3d7, v3
	v_add_f32_e32 v3, v11, v18
	v_add_f32_e32 v72, v16, v25
	;; [unrolled: 1-line block ×3, first 2 shown]
	v_fmamk_f32 v77, v6, 0x3f5db3d7, v10
	v_fmac_f32_e32 v10, 0xbf5db3d7, v6
	v_add_f32_e32 v78, v3, v15
	v_add_f32_e32 v3, v13, v12
	;; [unrolled: 1-line block ×4, first 2 shown]
	v_fmac_f32_e32 v11, -0.5, v16
	v_sub_f32_e32 v8, v30, v43
	v_fma_f32 v54, -0.5, v3, v2
	v_sub_f32_e32 v3, v35, v19
	v_add_f32_e32 v14, v4, v14
	v_fmac_f32_e32 v4, -0.5, v6
	v_sub_f32_e32 v6, v29, v33
	v_add_nc_u32_e32 v40, 0xc00, v56
	v_fmamk_f32 v55, v3, 0x3f5db3d7, v54
	v_fmac_f32_e32 v54, 0xbf5db3d7, v3
	v_add_nc_u32_e32 v42, 0x1400, v56
	v_add_nc_u32_e32 v3, 0x800, v56
	;; [unrolled: 1-line block ×8, first 2 shown]
	v_fmamk_f32 v66, v22, 0x3f5db3d7, v64
	v_fmac_f32_e32 v64, 0xbf5db3d7, v22
	v_fmamk_f32 v79, v8, 0x3f5db3d7, v11
	v_fmac_f32_e32 v11, 0xbf5db3d7, v8
	v_add_f32_e32 v80, v14, v5
	v_fmamk_f32 v81, v6, 0x3f5db3d7, v4
	v_fmac_f32_e32 v4, 0xbf5db3d7, v6
	s_waitcnt lgkmcnt(0)
	s_barrier
	buffer_gl0_inv
	ds_read2_b32 v[5:6], v56 offset1:180
	ds_read2_b32 v[32:33], v38 offset0:66 offset1:156
	ds_read2_b32 v[16:17], v40 offset0:42 offset1:132
	;; [unrolled: 1-line block ×4, first 2 shown]
	ds_read_b32 v8, v49
	ds_read2_b32 v[26:27], v44 offset0:94 offset1:184
	ds_read2_b32 v[22:23], v43 offset0:98 offset1:188
	;; [unrolled: 1-line block ×7, first 2 shown]
	s_waitcnt lgkmcnt(0)
	s_barrier
	buffer_gl0_inv
	ds_write2_b32 v103, v65, v66 offset1:10
	ds_write_b32 v103, v64 offset:80
	ds_write2_b32 v102, v67, v69 offset1:10
	ds_write_b32 v102, v39 offset:80
	;; [unrolled: 2-line block ×8, first 2 shown]
	s_and_saveexec_b32 s1, s0
	s_cbranch_execz .LBB0_27
; %bb.26:
	v_mov_b32_e32 v4, 2
	v_add_f32_e32 v2, v2, v13
	v_lshlrev_b32_sdwa v7, v4, v57 dst_sel:DWORD dst_unused:UNUSED_PAD src0_sel:DWORD src1_sel:WORD_0
	v_lshlrev_b32_sdwa v4, v4, v59 dst_sel:DWORD dst_unused:UNUSED_PAD src0_sel:DWORD src1_sel:WORD_0
	v_add_f32_e32 v2, v2, v12
	v_add3_u32 v4, 0, v7, v4
	ds_write2_b32 v4, v2, v55 offset1:10
	ds_write_b32 v4, v54 offset:80
.LBB0_27:
	s_or_b32 exec_lo, exec_lo, s1
	v_mul_lo_u16 v2, 0x89, v37
	v_mul_lo_u16 v4, 0x89, v36
	v_mov_b32_e32 v9, 5
	s_waitcnt lgkmcnt(0)
	s_barrier
	v_lshrrev_b16 v2, 12, v2
	v_lshrrev_b16 v4, 12, v4
	buffer_gl0_inv
	v_add_nc_u32_e32 v39, 0x1800, v56
	v_add_nc_u32_e32 v37, 0x1200, v56
	v_mul_lo_u16 v7, v2, 30
	v_mul_lo_u16 v10, v4, 30
	v_sub_nc_u16 v7, v96, v7
	v_sub_nc_u16 v61, v97, v10
	v_mov_b32_e32 v10, 0x8889
	v_lshlrev_b32_sdwa v11, v9, v7 dst_sel:DWORD dst_unused:UNUSED_PAD src0_sel:DWORD src1_sel:BYTE_0
	v_lshlrev_b32_sdwa v12, v9, v61 dst_sel:DWORD dst_unused:UNUSED_PAD src0_sel:DWORD src1_sel:BYTE_0
	s_clause 0x1
	global_load_dwordx4 v[67:70], v11, s[8:9] offset:160
	global_load_dwordx4 v[71:74], v11, s[8:9] offset:176
	v_mul_u32_u24_sdwa v11, v48, v10 dst_sel:DWORD dst_unused:UNUSED_PAD src0_sel:WORD_0 src1_sel:DWORD
	s_clause 0x1
	global_load_dwordx4 v[75:78], v12, s[8:9] offset:160
	global_load_dwordx4 v[79:82], v12, s[8:9] offset:176
	v_lshrrev_b32_e32 v64, 20, v11
	v_mul_u32_u24_sdwa v11, v47, v10 dst_sel:DWORD dst_unused:UNUSED_PAD src0_sel:WORD_0 src1_sel:DWORD
	v_mul_u32_u24_sdwa v10, v46, v10 dst_sel:DWORD dst_unused:UNUSED_PAD src0_sel:WORD_0 src1_sel:DWORD
	v_mul_lo_u16 v12, v64, 30
	v_lshrrev_b32_e32 v65, 20, v11
	v_lshrrev_b32_e32 v85, 20, v10
	v_sub_nc_u16 v66, v48, v12
	v_mul_lo_u16 v11, v65, 30
	v_mul_lo_u16 v10, v85, 30
	v_mul_u32_u24_e32 v85, 0x258, v85
	v_lshlrev_b32_sdwa v12, v9, v66 dst_sel:DWORD dst_unused:UNUSED_PAD src0_sel:DWORD src1_sel:WORD_0
	v_sub_nc_u16 v86, v47, v11
	v_sub_nc_u16 v98, v46, v10
	global_load_dwordx4 v[109:112], v12, s[8:9] offset:160
	v_lshlrev_b32_sdwa v11, v9, v86 dst_sel:DWORD dst_unused:UNUSED_PAD src0_sel:DWORD src1_sel:WORD_0
	v_lshlrev_b32_sdwa v9, v9, v98 dst_sel:DWORD dst_unused:UNUSED_PAD src0_sel:DWORD src1_sel:WORD_0
	s_clause 0x4
	global_load_dwordx4 v[113:116], v12, s[8:9] offset:176
	global_load_dwordx4 v[117:120], v11, s[8:9] offset:160
	;; [unrolled: 1-line block ×5, first 2 shown]
	ds_read2_b32 v[10:11], v56 offset1:180
	ds_read2_b32 v[59:60], v38 offset0:66 offset1:156
	ds_read2_b32 v[133:134], v40 offset0:42 offset1:132
	;; [unrolled: 1-line block ×4, first 2 shown]
	ds_read_b32 v36, v49
	ds_read2_b32 v[137:138], v44 offset0:94 offset1:184
	ds_read2_b32 v[139:140], v43 offset0:98 offset1:188
	;; [unrolled: 1-line block ×7, first 2 shown]
	v_mov_b32_e32 v9, 0x258
	v_mov_b32_e32 v62, 2
	v_mul_u32_u24_e32 v63, 0x258, v65
	s_waitcnt vmcnt(0) lgkmcnt(0)
	s_barrier
	v_mul_u32_u24_sdwa v2, v2, v9 dst_sel:DWORD dst_unused:UNUSED_PAD src0_sel:WORD_0 src1_sel:DWORD
	v_mul_u32_u24_sdwa v4, v4, v9 dst_sel:DWORD dst_unused:UNUSED_PAD src0_sel:WORD_0 src1_sel:DWORD
	v_mul_u32_u24_e32 v9, 0x258, v64
	v_lshlrev_b32_sdwa v7, v62, v7 dst_sel:DWORD dst_unused:UNUSED_PAD src0_sel:DWORD src1_sel:BYTE_0
	v_lshlrev_b32_sdwa v61, v62, v61 dst_sel:DWORD dst_unused:UNUSED_PAD src0_sel:DWORD src1_sel:BYTE_0
	v_lshlrev_b32_sdwa v65, v62, v66 dst_sel:DWORD dst_unused:UNUSED_PAD src0_sel:DWORD src1_sel:WORD_0
	v_lshlrev_b32_sdwa v86, v62, v86 dst_sel:DWORD dst_unused:UNUSED_PAD src0_sel:DWORD src1_sel:WORD_0
	;; [unrolled: 1-line block ×3, first 2 shown]
	v_add3_u32 v66, 0, v2, v7
	v_add3_u32 v64, 0, v4, v61
	;; [unrolled: 1-line block ×5, first 2 shown]
	buffer_gl0_inv
	v_mul_f32_e32 v105, v59, v68
	v_mul_f32_e32 v106, v134, v70
	;; [unrolled: 1-line block ×16, first 2 shown]
	v_fmac_f32_e32 v105, v32, v67
	v_fmac_f32_e32 v106, v17, v69
	v_fma_f32 v104, v134, v69, -v4
	v_fmac_f32_e32 v107, v34, v71
	v_fma_f32 v102, v83, v71, -v7
	;; [unrolled: 2-line block ×4, first 2 shown]
	v_fmac_f32_e32 v86, v26, v77
	v_fmac_f32_e32 v98, v35, v79
	v_fma_f32 v84, v84, v79, -v70
	v_fmac_f32_e32 v100, v22, v81
	v_fma_f32 v85, v139, v81, -v72
	v_mul_f32_e32 v80, v141, v110
	v_mul_f32_e32 v74, v138, v112
	;; [unrolled: 1-line block ×18, first 2 shown]
	v_fma_f32 v103, v59, v67, -v2
	v_fma_f32 v83, v137, v77, -v68
	v_mul_f32_e32 v2, v30, v110
	v_mul_f32_e32 v7, v28, v114
	;; [unrolled: 1-line block ×6, first 2 shown]
	v_fmac_f32_e32 v80, v30, v109
	v_fmac_f32_e32 v74, v27, v111
	v_fma_f32 v77, v138, v111, -v4
	v_fmac_f32_e32 v75, v28, v113
	v_fmac_f32_e32 v81, v23, v115
	v_fmac_f32_e32 v72, v31, v117
	v_fma_f32 v60, v142, v117, -v17
	v_fmac_f32_e32 v70, v24, v119
	v_fma_f32 v67, v145, v119, -v19
	v_fmac_f32_e32 v71, v29, v121
	v_fma_f32 v68, v144, v121, -v22
	v_fmac_f32_e32 v73, v20, v123
	v_fma_f32 v69, v57, v123, -v26
	v_fmac_f32_e32 v34, v16, v125
	v_fmac_f32_e32 v32, v25, v127
	v_fmac_f32_e32 v33, v18, v129
	;; [unrolled: 1-line block ×3, first 2 shown]
	v_fma_f32 v28, v58, v131, -v112
	v_add_f32_e32 v4, v106, v107
	v_sub_f32_e32 v16, v105, v106
	v_sub_f32_e32 v17, v108, v107
	v_add_f32_e32 v18, v105, v108
	v_sub_f32_e32 v19, v106, v105
	v_sub_f32_e32 v20, v107, v108
	v_add_f32_e32 v21, v8, v99
	v_add_f32_e32 v22, v86, v98
	v_sub_f32_e32 v25, v99, v86
	v_sub_f32_e32 v26, v100, v98
	v_add_f32_e32 v27, v99, v100
	v_sub_f32_e32 v57, v86, v99
	v_sub_f32_e32 v58, v98, v100
	v_fma_f32 v76, v141, v109, -v2
	v_fma_f32 v78, v143, v113, -v7
	;; [unrolled: 1-line block ×6, first 2 shown]
	v_add_f32_e32 v2, v5, v105
	v_sub_f32_e32 v7, v103, v101
	v_sub_f32_e32 v9, v104, v102
	;; [unrolled: 1-line block ×4, first 2 shown]
	v_fma_f32 v4, -0.5, v4, v5
	v_add_f32_e32 v16, v16, v17
	v_fma_f32 v5, -0.5, v18, v5
	v_add_f32_e32 v17, v19, v20
	v_add_f32_e32 v18, v21, v86
	v_fma_f32 v19, -0.5, v22, v8
	v_add_f32_e32 v20, v25, v26
	v_fmac_f32_e32 v8, -0.5, v27
	v_add_f32_e32 v21, v57, v58
	v_add_f32_e32 v22, v6, v80
	;; [unrolled: 1-line block ×3, first 2 shown]
	v_sub_f32_e32 v57, v80, v74
	v_sub_f32_e32 v58, v81, v75
	v_add_f32_e32 v59, v80, v81
	v_sub_f32_e32 v61, v74, v80
	v_sub_f32_e32 v109, v75, v81
	v_add_f32_e32 v110, v14, v72
	v_add_f32_e32 v111, v70, v71
	;; [unrolled: 1-line block ×5, first 2 shown]
	v_sub_f32_e32 v26, v76, v79
	v_sub_f32_e32 v27, v77, v78
	;; [unrolled: 1-line block ×8, first 2 shown]
	v_add_f32_e32 v119, v15, v34
	v_sub_f32_e32 v122, v30, v31
	v_fmamk_f32 v128, v7, 0xbf737871, v4
	v_fmac_f32_e32 v4, 0x3f737871, v7
	v_fmamk_f32 v129, v9, 0x3f737871, v5
	v_fmac_f32_e32 v5, 0xbf737871, v9
	v_add_f32_e32 v18, v18, v98
	v_fmamk_f32 v130, v23, 0xbf737871, v19
	v_fmac_f32_e32 v19, 0x3f737871, v23
	v_fmamk_f32 v131, v24, 0x3f737871, v8
	v_fmac_f32_e32 v8, 0xbf737871, v24
	v_add_f32_e32 v22, v22, v74
	v_fma_f32 v25, -0.5, v25, v6
	v_add_f32_e32 v57, v57, v58
	v_fmac_f32_e32 v6, -0.5, v59
	v_add_f32_e32 v59, v61, v109
	v_add_f32_e32 v61, v110, v70
	v_fma_f32 v109, -0.5, v111, v14
	v_fma_f32 v14, -0.5, v116, v14
	;; [unrolled: 1-line block ×3, first 2 shown]
	v_fmac_f32_e32 v15, -0.5, v125
	v_add_f32_e32 v2, v2, v106
	v_sub_f32_e32 v121, v29, v28
	v_sub_f32_e32 v126, v32, v34
	;; [unrolled: 1-line block ×3, first 2 shown]
	v_add_f32_e32 v110, v114, v115
	v_add_f32_e32 v111, v117, v118
	;; [unrolled: 1-line block ×3, first 2 shown]
	v_fmac_f32_e32 v128, 0xbf167918, v9
	v_fmac_f32_e32 v4, 0x3f167918, v9
	;; [unrolled: 1-line block ×4, first 2 shown]
	v_add_f32_e32 v7, v18, v100
	v_fmac_f32_e32 v130, 0xbf167918, v24
	v_fmac_f32_e32 v19, 0x3f167918, v24
	;; [unrolled: 1-line block ×4, first 2 shown]
	v_add_f32_e32 v9, v22, v75
	v_fmamk_f32 v18, v26, 0xbf737871, v25
	v_fmac_f32_e32 v25, 0x3f737871, v26
	v_fmamk_f32 v22, v27, 0x3f737871, v6
	v_fmac_f32_e32 v6, 0xbf737871, v27
	v_add_f32_e32 v23, v61, v71
	v_fmamk_f32 v24, v112, 0xbf737871, v109
	v_fmamk_f32 v61, v113, 0x3f737871, v14
	v_fmac_f32_e32 v14, 0xbf737871, v113
	v_fmamk_f32 v118, v122, 0x3f737871, v15
	v_fmac_f32_e32 v15, 0xbf737871, v122
	v_sub_f32_e32 v123, v34, v32
	v_sub_f32_e32 v124, v35, v33
	v_add_f32_e32 v2, v2, v107
	v_fmac_f32_e32 v109, 0x3f737871, v112
	v_fmamk_f32 v117, v121, 0xbf737871, v58
	v_fmac_f32_e32 v58, 0x3f737871, v121
	v_add_f32_e32 v116, v126, v127
	v_add_f32_e32 v114, v114, v33
	v_fmac_f32_e32 v18, 0xbf167918, v27
	v_fmac_f32_e32 v25, 0x3f167918, v27
	;; [unrolled: 1-line block ×8, first 2 shown]
	v_add_f32_e32 v115, v123, v124
	v_add_f32_e32 v2, v2, v108
	v_fmac_f32_e32 v128, 0x3e9e377a, v16
	v_fmac_f32_e32 v109, 0x3f167918, v113
	;; [unrolled: 1-line block ×12, first 2 shown]
	v_add_f32_e32 v9, v9, v81
	v_add_f32_e32 v16, v23, v73
	;; [unrolled: 1-line block ×3, first 2 shown]
	v_fmac_f32_e32 v18, 0x3e9e377a, v57
	v_fmac_f32_e32 v25, 0x3e9e377a, v57
	;; [unrolled: 1-line block ×12, first 2 shown]
	ds_write2_b32 v66, v2, v128 offset1:30
	ds_write2_b32 v66, v129, v5 offset0:60 offset1:90
	ds_write_b32 v66, v4 offset:480
	ds_write2_b32 v64, v7, v130 offset1:30
	ds_write2_b32 v64, v131, v8 offset0:60 offset1:90
	ds_write_b32 v64, v19 offset:480
	;; [unrolled: 3-line block ×5, first 2 shown]
	s_waitcnt lgkmcnt(0)
	s_barrier
	buffer_gl0_inv
	ds_read2_b32 v[8:9], v56 offset1:180
	ds_read2_b32 v[2:3], v3 offset0:118 offset1:238
	ds_read2_b32 v[14:15], v42 offset0:100 offset1:220
	;; [unrolled: 1-line block ×10, first 2 shown]
	ds_read_b32 v59, v49
	ds_read_b32 v61, v56 offset:8520
	v_lshl_add_u32 v57, v96, 2, 0
	s_and_saveexec_b32 s1, s0
	s_cbranch_execz .LBB0_29
; %bb.28:
	ds_read_b32 v53, v56 offset:5880
	ds_read_b32 v58, v57 offset:2880
	;; [unrolled: 1-line block ×3, first 2 shown]
.LBB0_29:
	s_or_b32 exec_lo, exec_lo, s1
	v_add_f32_e32 v38, v104, v102
	v_add_f32_e32 v40, v10, v103
	v_sub_f32_e32 v41, v105, v108
	v_add_f32_e32 v45, v103, v101
	v_sub_f32_e32 v42, v106, v107
	v_fma_f32 v38, -0.5, v38, v10
	v_add_f32_e32 v40, v40, v104
	v_sub_f32_e32 v43, v103, v104
	v_sub_f32_e32 v44, v101, v102
	;; [unrolled: 1-line block ×3, first 2 shown]
	v_fmamk_f32 v104, v41, 0x3f737871, v38
	v_sub_f32_e32 v105, v102, v101
	v_fma_f32 v10, -0.5, v45, v10
	v_add_f32_e32 v40, v40, v102
	v_fmac_f32_e32 v38, 0xbf737871, v41
	v_add_f32_e32 v45, v83, v84
	v_add_f32_e32 v102, v36, v82
	;; [unrolled: 1-line block ×3, first 2 shown]
	v_fmac_f32_e32 v104, 0x3f167918, v42
	v_fmamk_f32 v44, v42, 0xbf737871, v10
	v_fmac_f32_e32 v38, 0xbf167918, v42
	v_fma_f32 v45, -0.5, v45, v36
	v_sub_f32_e32 v99, v99, v100
	v_fmac_f32_e32 v10, 0x3f737871, v42
	v_add_f32_e32 v42, v102, v83
	v_fmac_f32_e32 v104, 0x3e9e377a, v43
	v_fmac_f32_e32 v44, 0x3f167918, v41
	;; [unrolled: 1-line block ×3, first 2 shown]
	v_fmamk_f32 v43, v99, 0x3f737871, v45
	v_sub_f32_e32 v86, v86, v98
	v_sub_f32_e32 v98, v82, v83
	;; [unrolled: 1-line block ×3, first 2 shown]
	v_add_f32_e32 v102, v82, v85
	v_fmac_f32_e32 v10, 0xbf167918, v41
	v_add_f32_e32 v41, v42, v84
	v_fmac_f32_e32 v45, 0xbf737871, v99
	v_sub_f32_e32 v82, v83, v82
	v_sub_f32_e32 v83, v84, v85
	v_add_f32_e32 v84, v11, v76
	v_fmac_f32_e32 v43, 0x3f167918, v86
	v_add_f32_e32 v42, v98, v100
	v_fmac_f32_e32 v36, -0.5, v102
	v_add_f32_e32 v41, v41, v85
	v_fmac_f32_e32 v45, 0xbf167918, v86
	v_add_f32_e32 v85, v77, v78
	v_add_f32_e32 v82, v82, v83
	;; [unrolled: 1-line block ×3, first 2 shown]
	v_fmac_f32_e32 v43, 0x3e9e377a, v42
	v_fmamk_f32 v98, v86, 0xbf737871, v36
	v_fmac_f32_e32 v36, 0x3f737871, v86
	v_fma_f32 v84, -0.5, v85, v11
	v_sub_f32_e32 v80, v80, v81
	v_fmac_f32_e32 v45, 0x3e9e377a, v42
	v_add_f32_e32 v42, v83, v78
	v_add_f32_e32 v83, v76, v79
	v_fmac_f32_e32 v98, 0x3f167918, v99
	v_fmac_f32_e32 v36, 0xbf167918, v99
	v_fmamk_f32 v81, v80, 0x3f737871, v84
	v_sub_f32_e32 v74, v74, v75
	v_fmac_f32_e32 v11, -0.5, v83
	v_fmac_f32_e32 v84, 0xbf737871, v80
	v_fmac_f32_e32 v98, 0x3e9e377a, v82
	v_sub_f32_e32 v75, v76, v77
	v_sub_f32_e32 v85, v79, v78
	v_fmac_f32_e32 v36, 0x3e9e377a, v82
	v_fmac_f32_e32 v81, 0x3f167918, v74
	v_fmamk_f32 v82, v74, 0xbf737871, v11
	v_sub_f32_e32 v76, v77, v76
	v_sub_f32_e32 v77, v78, v79
	v_fmac_f32_e32 v84, 0xbf167918, v74
	v_add_f32_e32 v78, v67, v68
	v_fmac_f32_e32 v11, 0x3f737871, v74
	v_add_f32_e32 v74, v12, v60
	v_add_f32_e32 v75, v75, v85
	;; [unrolled: 1-line block ×3, first 2 shown]
	v_fma_f32 v77, -0.5, v78, v12
	v_sub_f32_e32 v72, v72, v73
	v_add_f32_e32 v73, v74, v67
	v_fmac_f32_e32 v81, 0x3e9e377a, v75
	v_fmac_f32_e32 v84, 0x3e9e377a, v75
	v_sub_f32_e32 v70, v70, v71
	v_fmamk_f32 v74, v72, 0x3f737871, v77
	v_sub_f32_e32 v71, v60, v67
	v_sub_f32_e32 v75, v69, v68
	v_fmac_f32_e32 v77, 0xbf737871, v72
	v_add_f32_e32 v78, v60, v69
	v_add_f32_e32 v73, v73, v68
	v_fmac_f32_e32 v74, 0x3f167918, v70
	v_add_f32_e32 v71, v71, v75
	v_fmac_f32_e32 v77, 0xbf167918, v70
	v_fma_f32 v12, -0.5, v78, v12
	v_add_f32_e32 v73, v73, v69
	v_sub_f32_e32 v67, v67, v60
	v_sub_f32_e32 v68, v68, v69
	v_add_f32_e32 v69, v13, v29
	v_fmac_f32_e32 v74, 0x3e9e377a, v71
	v_fmac_f32_e32 v77, 0x3e9e377a, v71
	v_fmamk_f32 v71, v70, 0xbf737871, v12
	v_add_f32_e32 v75, v30, v31
	v_fmac_f32_e32 v12, 0x3f737871, v70
	v_sub_f32_e32 v34, v34, v35
	v_add_f32_e32 v35, v67, v68
	v_add_f32_e32 v67, v69, v30
	;; [unrolled: 1-line block ×3, first 2 shown]
	v_fma_f32 v60, -0.5, v75, v13
	v_fmac_f32_e32 v71, 0x3f167918, v72
	v_fmac_f32_e32 v12, 0xbf167918, v72
	v_sub_f32_e32 v32, v32, v33
	v_fmac_f32_e32 v13, -0.5, v69
	v_fmamk_f32 v68, v34, 0x3f737871, v60
	v_fmac_f32_e32 v71, 0x3e9e377a, v35
	v_fmac_f32_e32 v12, 0x3e9e377a, v35
	v_add_f32_e32 v33, v67, v31
	v_sub_f32_e32 v35, v29, v30
	v_sub_f32_e32 v67, v28, v31
	v_fmac_f32_e32 v60, 0xbf737871, v34
	v_fmamk_f32 v69, v32, 0xbf737871, v13
	v_sub_f32_e32 v29, v30, v29
	v_sub_f32_e32 v30, v31, v28
	v_fmac_f32_e32 v13, 0x3f737871, v32
	v_add_f32_e32 v40, v40, v101
	v_add_f32_e32 v101, v103, v105
	v_fmac_f32_e32 v82, 0x3f167918, v80
	v_fmac_f32_e32 v11, 0xbf167918, v80
	;; [unrolled: 1-line block ×3, first 2 shown]
	v_add_f32_e32 v31, v35, v67
	v_fmac_f32_e32 v60, 0xbf167918, v32
	v_fmac_f32_e32 v69, 0x3f167918, v34
	v_add_f32_e32 v29, v29, v30
	v_fmac_f32_e32 v13, 0xbf167918, v34
	v_fmac_f32_e32 v44, 0x3e9e377a, v101
	;; [unrolled: 1-line block ×3, first 2 shown]
	v_add_f32_e32 v42, v42, v79
	v_fmac_f32_e32 v82, 0x3e9e377a, v76
	v_fmac_f32_e32 v11, 0x3e9e377a, v76
	v_add_f32_e32 v28, v33, v28
	v_fmac_f32_e32 v68, 0x3e9e377a, v31
	v_fmac_f32_e32 v60, 0x3e9e377a, v31
	v_fmac_f32_e32 v69, 0x3e9e377a, v29
	v_fmac_f32_e32 v13, 0x3e9e377a, v29
	s_waitcnt lgkmcnt(0)
	s_barrier
	buffer_gl0_inv
	ds_write2_b32 v66, v40, v104 offset1:30
	ds_write2_b32 v66, v44, v10 offset0:60 offset1:90
	ds_write_b32 v66, v38 offset:480
	ds_write2_b32 v64, v41, v43 offset1:30
	ds_write2_b32 v64, v98, v36 offset0:60 offset1:90
	ds_write_b32 v64, v45 offset:480
	;; [unrolled: 3-line block ×5, first 2 shown]
	v_add_nc_u32_e32 v10, 0x800, v56
	v_add_nc_u32_e32 v11, 0x1400, v56
	;; [unrolled: 1-line block ×3, first 2 shown]
	s_waitcnt lgkmcnt(0)
	s_barrier
	buffer_gl0_inv
	ds_read2_b32 v[28:29], v56 offset1:180
	ds_read2_b32 v[12:13], v10 offset0:118 offset1:238
	ds_read2_b32 v[10:11], v11 offset0:100 offset1:220
	;; [unrolled: 1-line block ×3, first 2 shown]
	v_add_nc_u32_e32 v30, 0x400, v56
	v_add_nc_u32_e32 v31, 0xe00, v56
	;; [unrolled: 1-line block ×5, first 2 shown]
	ds_read2_b32 v[44:45], v39 offset0:54 offset1:144
	ds_read2_b32 v[32:33], v30 offset0:14 offset1:104
	;; [unrolled: 1-line block ×7, first 2 shown]
	ds_read_b32 v62, v49
	ds_read_b32 v63, v56 offset:8520
	s_and_saveexec_b32 s1, s0
	s_cbranch_execz .LBB0_31
; %bb.30:
	ds_read_b32 v55, v56 offset:5880
	ds_read_b32 v60, v57 offset:2880
	;; [unrolled: 1-line block ×3, first 2 shown]
.LBB0_31:
	s_or_b32 exec_lo, exec_lo, s1
	v_lshlrev_b32_e32 v64, 1, v96
	v_mov_b32_e32 v65, 0
	v_subrev_nc_u32_e32 v68, 60, v96
	v_cmp_gt_u32_e64 s1, 60, v96
	v_lshrrev_b16 v69, 1, v47
	v_mov_b32_e32 v75, 0xda75
	v_lshlrev_b64 v[66:67], 3, v[64:65]
	v_add_nc_u32_e32 v64, 60, v64
	v_mov_b32_e32 v74, v65
	v_cndmask_b32_e64 v68, v68, v97, s1
	v_mul_u32_u24_sdwa v76, v69, v75 dst_sel:DWORD dst_unused:UNUSED_PAD src0_sel:WORD_0 src1_sel:DWORD
	v_lshrrev_b16 v86, 1, v51
	v_lshlrev_b64 v[64:65], 3, v[64:65]
	v_add_co_u32 v66, s1, s8, v66
	v_add_co_ci_u32_e64 v67, s1, s9, v67, s1
	v_lshlrev_b32_e32 v73, 1, v68
	v_add_co_u32 v64, s1, s8, v64
	v_add_co_ci_u32_e64 v65, s1, s9, v65, s1
	global_load_dwordx4 v[69:72], v[66:67], off offset:1120
	v_lshlrev_b32_e32 v68, 2, v68
	global_load_dwordx4 v[78:81], v[64:65], off offset:1120
	v_lshlrev_b64 v[66:67], 3, v[73:74]
	v_lshrrev_b16 v74, 1, v91
	v_lshrrev_b32_e32 v73, 22, v76
	v_mul_u32_u24_sdwa v74, v74, v75 dst_sel:DWORD dst_unused:UNUSED_PAD src0_sel:WORD_0 src1_sel:DWORD
	v_add_co_u32 v66, s1, s8, v66
	v_add_co_ci_u32_e64 v67, s1, s9, v67, s1
	v_lshrrev_b32_e32 v64, 22, v74
	v_mul_lo_u16 v76, 0x96, v73
	v_lshrrev_b16 v74, 1, v46
	global_load_dwordx4 v[82:85], v[66:67], off offset:1120
	v_lshrrev_b16 v67, 1, v95
	v_mul_lo_u16 v66, 0x96, v64
	v_sub_nc_u16 v65, v47, v76
	v_mov_b32_e32 v76, 4
	v_mul_u32_u24_sdwa v74, v74, v75 dst_sel:DWORD dst_unused:UNUSED_PAD src0_sel:WORD_0 src1_sel:DWORD
	v_mul_u32_u24_sdwa v67, v67, v75 dst_sel:DWORD dst_unused:UNUSED_PAD src0_sel:WORD_0 src1_sel:DWORD
	v_sub_nc_u16 v66, v91, v66
	v_cmp_lt_u32_e64 s1, 59, v96
	v_lshlrev_b32_sdwa v77, v76, v65 dst_sel:DWORD dst_unused:UNUSED_PAD src0_sel:DWORD src1_sel:WORD_0
	v_lshrrev_b32_e32 v74, 22, v74
	v_lshrrev_b32_e32 v67, 22, v67
	v_lshlrev_b32_sdwa v76, v76, v66 dst_sel:DWORD dst_unused:UNUSED_PAD src0_sel:DWORD src1_sel:WORD_0
	v_mul_u32_u24_e32 v73, 0x708, v73
	global_load_dwordx4 v[98:101], v77, s[8:9] offset:1120
	v_mul_lo_u16 v74, 0x96, v74
	v_mul_lo_u16 v67, 0x96, v67
	global_load_dwordx4 v[102:105], v76, s[8:9] offset:1120
	v_lshrrev_b16 v77, 1, v50
	v_sub_nc_u16 v74, v46, v74
	v_sub_nc_u16 v67, v95, v67
	v_mul_u32_u24_sdwa v77, v77, v75 dst_sel:DWORD dst_unused:UNUSED_PAD src0_sel:WORD_0 src1_sel:DWORD
	v_mul_u32_u24_sdwa v75, v86, v75 dst_sel:DWORD dst_unused:UNUSED_PAD src0_sel:WORD_0 src1_sel:DWORD
	v_and_b32_e32 v74, 0xffff, v74
	v_add_nc_u32_e32 v86, 0x600, v57
	v_lshrrev_b32_e32 v76, 22, v77
	v_lshrrev_b32_e32 v75, 22, v75
	v_and_b32_e32 v77, 0xffff, v67
	v_lshlrev_b32_e32 v67, 4, v74
	v_mul_lo_u16 v76, 0x96, v76
	v_mul_lo_u16 v75, 0x96, v75
	global_load_dwordx4 v[106:109], v67, s[8:9] offset:1120
	v_sub_nc_u16 v50, v50, v76
	v_sub_nc_u16 v51, v51, v75
	v_lshlrev_b32_e32 v76, 4, v77
	v_and_b32_e32 v50, 0xffff, v50
	v_and_b32_e32 v75, 0xffff, v51
	global_load_dwordx4 v[110:113], v76, s[8:9] offset:1120
	v_mul_u32_u24_e32 v76, 0x708, v64
	v_lshl_add_u32 v64, v77, 2, 0
	v_lshlrev_b32_e32 v51, 4, v50
	v_lshlrev_b32_e32 v67, 4, v75
	s_clause 0x1
	global_load_dwordx4 v[114:117], v51, s[8:9] offset:1120
	global_load_dwordx4 v[118:121], v67, s[8:9] offset:1120
	v_mov_b32_e32 v51, 2
	v_cndmask_b32_e64 v67, 0, 0x708, s1
	s_waitcnt vmcnt(0) lgkmcnt(0)
	s_barrier
	buffer_gl0_inv
	v_lshlrev_b32_sdwa v65, v51, v65 dst_sel:DWORD dst_unused:UNUSED_PAD src0_sel:DWORD src1_sel:WORD_0
	v_add3_u32 v68, 0, v67, v68
	v_lshlrev_b32_sdwa v51, v51, v66 dst_sel:DWORD dst_unused:UNUSED_PAD src0_sel:DWORD src1_sel:WORD_0
	v_lshl_add_u32 v66, v74, 2, 0
	v_add_nc_u32_e32 v123, 0x1400, v64
	v_add3_u32 v67, 0, v73, v65
	v_lshl_add_u32 v65, v50, 2, 0
	v_add3_u32 v51, 0, v76, v51
	v_lshl_add_u32 v50, v75, 2, 0
	v_add_nc_u32_e32 v122, 0xe00, v66
	v_add_nc_u32_e32 v124, 0x1c00, v65
	v_mul_f32_e32 v73, v13, v70
	v_mul_f32_e32 v70, v3, v70
	;; [unrolled: 1-line block ×4, first 2 shown]
	v_fmac_f32_e32 v73, v3, v69
	v_mul_f32_e32 v3, v27, v79
	v_fma_f32 v77, v13, v69, -v70
	v_fmac_f32_e32 v74, v15, v71
	v_mul_f32_e32 v69, v43, v79
	v_fma_f32 v72, v11, v71, -v72
	v_mul_f32_e32 v70, v45, v81
	v_mul_f32_e32 v11, v25, v81
	v_fma_f32 v71, v43, v78, -v3
	v_fmac_f32_e32 v69, v27, v78
	v_add_f32_e32 v79, v73, v74
	v_fmac_f32_e32 v70, v25, v80
	v_fma_f32 v25, v45, v80, -v11
	v_mul_f32_e32 v75, v42, v83
	v_mul_f32_e32 v76, v44, v85
	;; [unrolled: 1-line block ×4, first 2 shown]
	v_add_f32_e32 v78, v8, v73
	v_fmac_f32_e32 v75, v26, v82
	v_fmac_f32_e32 v76, v24, v84
	v_sub_f32_e32 v80, v77, v72
	v_fma_f32 v45, v42, v82, -v13
	v_fma_f32 v79, -0.5, v79, v8
	v_fma_f32 v44, v44, v84, -v15
	v_add_f32_e32 v78, v78, v74
	v_add_f32_e32 v84, v69, v70
	;; [unrolled: 1-line block ×3, first 2 shown]
	v_mul_f32_e32 v43, v38, v101
	v_mul_f32_e32 v27, v40, v99
	;; [unrolled: 1-line block ×8, first 2 shown]
	v_fmac_f32_e32 v43, v20, v100
	v_fmac_f32_e32 v27, v22, v98
	v_fma_f32 v42, v40, v98, -v81
	v_fma_f32 v40, v38, v100, -v83
	v_fmac_f32_e32 v3, v19, v102
	v_fma_f32 v19, v37, v102, -v85
	v_fmac_f32_e32 v11, v17, v104
	v_fma_f32 v8, v35, v104, -v99
	v_add_f32_e32 v103, v75, v76
	v_fmamk_f32 v102, v80, 0xbf5db3d7, v79
	v_fmac_f32_e32 v79, 0x3f5db3d7, v80
	v_add_f32_e32 v80, v59, v75
	v_sub_f32_e32 v104, v45, v44
	v_fmac_f32_e32 v59, -0.5, v103
	v_mul_f32_e32 v20, v41, v107
	v_mul_f32_e32 v26, v39, v109
	;; [unrolled: 1-line block ×4, first 2 shown]
	v_sub_f32_e32 v101, v71, v25
	v_fmac_f32_e32 v20, v23, v106
	v_fmac_f32_e32 v26, v21, v108
	v_fma_f32 v23, v41, v106, -v81
	v_fma_f32 v21, v39, v108, -v83
	v_mul_f32_e32 v22, v36, v111
	v_mul_f32_e32 v38, v34, v113
	;; [unrolled: 1-line block ×4, first 2 shown]
	v_fmac_f32_e32 v9, -0.5, v84
	v_fmac_f32_e32 v22, v18, v110
	v_fmac_f32_e32 v38, v16, v112
	v_mul_f32_e32 v13, v10, v115
	v_mul_f32_e32 v35, v14, v115
	;; [unrolled: 1-line block ×5, first 2 shown]
	v_fmac_f32_e32 v13, v14, v114
	v_fma_f32 v14, v10, v114, -v35
	v_fmac_f32_e32 v17, v61, v116
	v_fma_f32 v10, v63, v116, -v37
	v_add_f32_e32 v37, v27, v43
	v_mul_f32_e32 v99, v52, v121
	v_add_f32_e32 v61, v20, v26
	v_mul_f32_e32 v15, v55, v119
	v_mul_f32_e32 v85, v53, v119
	v_fma_f32 v18, v36, v110, -v98
	v_fma_f32 v16, v34, v112, -v100
	v_fmac_f32_e32 v24, v52, v120
	v_add_f32_e32 v52, v3, v11
	ds_write2_b32 v56, v78, v102 offset1:150
	ds_write_b32 v56, v79 offset:1200
	v_add_f32_e32 v79, v22, v38
	v_add_f32_e32 v36, v6, v27
	v_sub_f32_e32 v39, v42, v40
	v_fma_f32 v6, -0.5, v37, v6
	v_add_f32_e32 v81, v13, v17
	v_fma_f32 v34, v54, v120, -v99
	v_add_f32_e32 v54, v80, v76
	v_add_f32_e32 v37, v7, v20
	v_sub_f32_e32 v63, v23, v21
	v_fmamk_f32 v84, v104, 0xbf5db3d7, v59
	v_fmac_f32_e32 v7, -0.5, v61
	v_fmac_f32_e32 v59, 0x3f5db3d7, v104
	v_add_f32_e32 v82, v82, v70
	v_fmac_f32_e32 v15, v53, v118
	v_fma_f32 v35, v55, v118, -v85
	v_add_f32_e32 v41, v5, v3
	v_sub_f32_e32 v53, v19, v8
	v_fmamk_f32 v55, v101, 0xbf5db3d7, v9
	v_add_f32_e32 v78, v4, v22
	v_sub_f32_e32 v80, v18, v16
	v_fmac_f32_e32 v5, -0.5, v52
	v_fma_f32 v4, -0.5, v79, v4
	v_fmac_f32_e32 v9, 0x3f5db3d7, v101
	v_add_f32_e32 v36, v36, v43
	v_add_f32_e32 v52, v2, v13
	v_sub_f32_e32 v83, v14, v10
	v_fmamk_f32 v85, v39, 0xbf5db3d7, v6
	v_fmac_f32_e32 v2, -0.5, v81
	v_fmac_f32_e32 v6, 0x3f5db3d7, v39
	v_add_f32_e32 v37, v37, v26
	ds_write2_b32 v68, v54, v84 offset1:150
	ds_write_b32 v68, v59 offset:1200
	ds_write2_b32 v86, v82, v55 offset0:96 offset1:246
	ds_write_b32 v57, v9 offset:3120
	v_fmamk_f32 v9, v63, 0xbf5db3d7, v7
	v_fmac_f32_e32 v7, 0x3f5db3d7, v63
	v_add_f32_e32 v39, v78, v38
	v_fmamk_f32 v61, v53, 0xbf5db3d7, v5
	v_fmac_f32_e32 v5, 0x3f5db3d7, v53
	v_fmamk_f32 v53, v80, 0xbf5db3d7, v4
	v_add_f32_e32 v41, v41, v11
	v_add_f32_e32 v52, v52, v17
	v_fmac_f32_e32 v4, 0x3f5db3d7, v80
	v_fmamk_f32 v54, v83, 0xbf5db3d7, v2
	v_fmac_f32_e32 v2, 0x3f5db3d7, v83
	ds_write2_b32 v67, v36, v85 offset1:150
	ds_write_b32 v67, v6 offset:1200
	ds_write2_b32 v122, v37, v9 offset0:4 offset1:154
	ds_write_b32 v66, v7 offset:4800
	ds_write2_b32 v123, v39, v53 offset0:70 offset1:220
	ds_write_b32 v64, v4 offset:6600
	ds_write2_b32 v51, v41, v61 offset1:150
	ds_write_b32 v51, v5 offset:1200
	ds_write2_b32 v124, v52, v54 offset0:8 offset1:158
	ds_write_b32 v65, v2 offset:8400
	s_and_saveexec_b32 s1, s0
	s_cbranch_execz .LBB0_33
; %bb.32:
	v_add_f32_e32 v2, v15, v24
	v_sub_f32_e32 v4, v35, v34
	v_add_f32_e32 v5, v58, v15
	v_add_nc_u32_e32 v6, 0x1c00, v50
	v_fma_f32 v2, -0.5, v2, v58
	v_add_f32_e32 v5, v5, v24
	v_fmamk_f32 v7, v4, 0x3f5db3d7, v2
	v_fmac_f32_e32 v2, 0xbf5db3d7, v4
	ds_write2_b32 v6, v5, v2 offset0:8 offset1:158
	ds_write_b32 v50, v7 offset:8400
.LBB0_33:
	s_or_b32 exec_lo, exec_lo, s1
	v_add_f32_e32 v2, v77, v72
	v_add_f32_e32 v4, v28, v77
	v_sub_f32_e32 v5, v73, v74
	v_add_f32_e32 v6, v45, v44
	v_sub_f32_e32 v7, v75, v76
	v_fma_f32 v36, -0.5, v2, v28
	v_add_f32_e32 v2, v62, v45
	v_add_f32_e32 v37, v4, v72
	;; [unrolled: 1-line block ×3, first 2 shown]
	v_fmac_f32_e32 v62, -0.5, v6
	v_fmamk_f32 v41, v5, 0x3f5db3d7, v36
	v_add_f32_e32 v44, v2, v44
	v_add_f32_e32 v2, v71, v25
	v_fmac_f32_e32 v36, 0xbf5db3d7, v5
	v_add_f32_e32 v5, v42, v40
	v_add_f32_e32 v52, v4, v25
	;; [unrolled: 1-line block ×3, first 2 shown]
	v_fmac_f32_e32 v29, -0.5, v2
	v_sub_f32_e32 v2, v69, v70
	v_fma_f32 v32, -0.5, v5, v32
	v_sub_f32_e32 v5, v27, v43
	v_add_f32_e32 v40, v4, v40
	v_add_f32_e32 v4, v33, v23
	v_fmamk_f32 v42, v2, 0x3f5db3d7, v29
	v_fmac_f32_e32 v29, 0xbf5db3d7, v2
	v_add_f32_e32 v2, v23, v21
	v_fmamk_f32 v43, v5, 0x3f5db3d7, v32
	v_fmac_f32_e32 v32, 0xbf5db3d7, v5
	v_add_f32_e32 v5, v18, v16
	v_add_f32_e32 v53, v4, v21
	v_fmac_f32_e32 v33, -0.5, v2
	v_sub_f32_e32 v2, v20, v26
	v_add_f32_e32 v4, v30, v18
	v_fma_f32 v30, -0.5, v5, v30
	v_sub_f32_e32 v5, v22, v38
	v_fmamk_f32 v45, v7, 0x3f5db3d7, v62
	v_fmamk_f32 v38, v2, 0x3f5db3d7, v33
	v_fmac_f32_e32 v33, 0xbf5db3d7, v2
	v_add_f32_e32 v54, v4, v16
	v_add_f32_e32 v2, v19, v8
	;; [unrolled: 1-line block ×3, first 2 shown]
	v_fmamk_f32 v55, v5, 0x3f5db3d7, v30
	v_fmac_f32_e32 v30, 0xbf5db3d7, v5
	v_add_f32_e32 v5, v31, v19
	v_fmac_f32_e32 v31, -0.5, v2
	v_sub_f32_e32 v2, v3, v11
	v_add_f32_e32 v3, v12, v14
	v_fmac_f32_e32 v12, -0.5, v4
	v_sub_f32_e32 v4, v13, v17
	v_fmac_f32_e32 v62, 0xbf5db3d7, v7
	v_add_nc_u32_e32 v6, 0xc00, v56
	v_add_nc_u32_e32 v7, 0x1400, v56
	;; [unrolled: 1-line block ×3, first 2 shown]
	v_fmamk_f32 v63, v4, 0x3f5db3d7, v12
	v_fmac_f32_e32 v12, 0xbf5db3d7, v4
	v_add_nc_u32_e32 v4, 0x600, v56
	v_add_nc_u32_e32 v14, 0xe00, v56
	v_add_nc_u32_e32 v16, 0x1c00, v56
	v_add_f32_e32 v58, v5, v8
	v_fmamk_f32 v59, v2, 0x3f5db3d7, v31
	v_fmac_f32_e32 v31, 0xbf5db3d7, v2
	v_add_f32_e32 v61, v3, v10
	s_waitcnt lgkmcnt(0)
	s_barrier
	buffer_gl0_inv
	ds_read2_b32 v[2:3], v56 offset1:180
	ds_read2_b32 v[4:5], v4 offset0:66 offset1:156
	ds_read2_b32 v[8:9], v6 offset0:42 offset1:132
	;; [unrolled: 1-line block ×4, first 2 shown]
	ds_read_b32 v39, v49
	ds_read2_b32 v[22:23], v14 offset0:94 offset1:184
	ds_read2_b32 v[20:21], v16 offset0:98 offset1:188
	v_add_nc_u32_e32 v13, 0x800, v56
	v_add_nc_u32_e32 v14, 0x1600, v56
	;; [unrolled: 1-line block ×5, first 2 shown]
	ds_read2_b32 v[16:17], v13 offset0:118 offset1:208
	ds_read2_b32 v[18:19], v14 offset0:122 offset1:212
	;; [unrolled: 1-line block ×5, first 2 shown]
	v_add_nc_u32_e32 v69, 0x600, v57
	s_waitcnt lgkmcnt(0)
	s_barrier
	buffer_gl0_inv
	ds_write2_b32 v56, v37, v41 offset1:150
	ds_write_b32 v56, v36 offset:1200
	ds_write2_b32 v68, v44, v45 offset1:150
	ds_write_b32 v68, v62 offset:1200
	ds_write2_b32 v69, v52, v42 offset0:96 offset1:246
	v_add_nc_u32_e32 v36, 0xe00, v66
	ds_write_b32 v57, v29 offset:3120
	ds_write2_b32 v67, v40, v43 offset1:150
	v_add_nc_u32_e32 v29, 0x1400, v64
	ds_write_b32 v67, v32 offset:1200
	ds_write2_b32 v36, v53, v38 offset0:4 offset1:154
	ds_write_b32 v66, v33 offset:4800
	v_add_nc_u32_e32 v32, 0x1c00, v65
	ds_write2_b32 v29, v54, v55 offset0:70 offset1:220
	ds_write_b32 v64, v30 offset:6600
	ds_write2_b32 v51, v58, v59 offset1:150
	ds_write_b32 v51, v31 offset:1200
	ds_write2_b32 v32, v61, v63 offset0:8 offset1:158
	ds_write_b32 v65, v12 offset:8400
	s_and_saveexec_b32 s1, s0
	s_cbranch_execz .LBB0_35
; %bb.34:
	v_add_f32_e32 v12, v35, v34
	v_add_f32_e32 v29, v60, v35
	v_sub_f32_e32 v15, v15, v24
	v_fmac_f32_e32 v60, -0.5, v12
	v_add_nc_u32_e32 v12, 0x1c00, v50
	v_add_f32_e32 v24, v29, v34
	v_fmamk_f32 v29, v15, 0x3f5db3d7, v60
	v_fmamk_f32 v15, v15, 0xbf5db3d7, v60
	ds_write2_b32 v12, v24, v29 offset0:8 offset1:158
	ds_write_b32 v50, v15 offset:8400
.LBB0_35:
	s_or_b32 exec_lo, exec_lo, s1
	s_waitcnt lgkmcnt(0)
	s_barrier
	buffer_gl0_inv
	s_and_saveexec_b32 s0, vcc_lo
	s_cbranch_execz .LBB0_37
; %bb.36:
	v_lshlrev_b32_e32 v37, 2, v46
	v_mov_b32_e32 v38, 0
	v_add_nc_u32_e32 v24, 0x1a00, v56
	v_add_nc_u32_e32 v81, 0x2000, v56
	;; [unrolled: 1-line block ×4, first 2 shown]
	v_lshlrev_b64 v[29:30], 3, v[37:38]
	v_lshlrev_b32_e32 v37, 2, v47
	v_add_nc_u32_e32 v101, 0xe00, v56
	v_lshlrev_b64 v[40:41], 3, v[37:38]
	v_add_co_u32 v12, vcc_lo, s8, v29
	v_add_co_ci_u32_e32 v15, vcc_lo, s9, v30, vcc_lo
	v_lshlrev_b32_e32 v37, 2, v48
	v_add_co_u32 v29, vcc_lo, 0x800, v12
	v_add_co_ci_u32_e32 v30, vcc_lo, 0, v15, vcc_lo
	v_add_co_u32 v33, vcc_lo, 0xdc0, v12
	v_add_co_ci_u32_e32 v34, vcc_lo, 0, v15, vcc_lo
	;; [unrolled: 2-line block ×3, first 2 shown]
	s_clause 0x1
	global_load_dwordx4 v[29:32], v[29:30], off offset:1472
	global_load_dwordx4 v[33:36], v[33:34], off offset:16
	v_add_co_u32 v40, vcc_lo, 0x800, v12
	v_add_co_ci_u32_e32 v41, vcc_lo, 0, v15, vcc_lo
	v_add_co_u32 v44, vcc_lo, 0xdc0, v12
	v_add_co_ci_u32_e32 v45, vcc_lo, 0, v15, vcc_lo
	s_clause 0x1
	global_load_dwordx4 v[40:43], v[40:41], off offset:1472
	global_load_dwordx4 v[50:53], v[44:45], off offset:16
	v_lshlrev_b64 v[44:45], 3, v[37:38]
	v_lshlrev_b32_e32 v37, 2, v97
	v_add_nc_u32_e32 v97, 0x800, v56
	v_add_co_u32 v12, vcc_lo, s8, v44
	v_add_co_ci_u32_e32 v15, vcc_lo, s9, v45, vcc_lo
	v_add_co_u32 v44, vcc_lo, 0x800, v12
	v_add_co_ci_u32_e32 v45, vcc_lo, 0, v15, vcc_lo
	;; [unrolled: 2-line block ×3, first 2 shown]
	s_clause 0x1
	global_load_dwordx4 v[57:60], v[44:45], off offset:1472
	global_load_dwordx4 v[61:64], v[54:55], off offset:16
	v_lshlrev_b64 v[44:45], 3, v[37:38]
	v_lshlrev_b32_e32 v37, 2, v96
	v_add_co_u32 v12, vcc_lo, s8, v44
	v_add_co_ci_u32_e32 v15, vcc_lo, s9, v45, vcc_lo
	v_lshlrev_b64 v[37:38], 3, v[37:38]
	v_add_co_u32 v44, vcc_lo, 0x800, v12
	v_add_co_ci_u32_e32 v45, vcc_lo, 0, v15, vcc_lo
	v_add_co_u32 v54, vcc_lo, 0xdc0, v12
	v_add_co_ci_u32_e32 v55, vcc_lo, 0, v15, vcc_lo
	s_clause 0x1
	global_load_dwordx4 v[65:68], v[44:45], off offset:1472
	global_load_dwordx4 v[69:72], v[54:55], off offset:16
	v_add_co_u32 v12, vcc_lo, s8, v37
	v_add_co_ci_u32_e32 v15, vcc_lo, s9, v38, vcc_lo
	v_add_co_u32 v37, vcc_lo, 0x800, v12
	v_add_co_ci_u32_e32 v38, vcc_lo, 0, v15, vcc_lo
	v_add_co_u32 v44, vcc_lo, 0xdc0, v12
	v_add_co_ci_u32_e32 v45, vcc_lo, 0, v15, vcc_lo
	s_clause 0x1
	global_load_dwordx4 v[73:76], v[37:38], off offset:1472
	global_load_dwordx4 v[77:80], v[44:45], off offset:16
	v_add_nc_u32_e32 v12, 0x1000, v56
	v_add_nc_u32_e32 v15, 0xc00, v56
	ds_read2_b32 v[37:38], v12 offset0:146 offset1:236
	ds_read2_b32 v[44:45], v24 offset0:46 offset1:136
	;; [unrolled: 1-line block ×4, first 2 shown]
	v_add_nc_u32_e32 v12, 0x1c00, v56
	ds_read2_b32 v[83:84], v56 offset1:180
	v_add_nc_u32_e32 v15, 0x600, v56
	v_add_nc_u32_e32 v24, 0x1400, v56
	ds_read_b32 v49, v49
	ds_read2_b32 v[85:86], v85 offset0:14 offset1:104
	ds_read2_b32 v[97:98], v97 offset0:118 offset1:208
	ds_read2_b32 v[99:100], v99 offset0:122 offset1:212
	ds_read2_b32 v[101:102], v101 offset0:94 offset1:184
	ds_read2_b32 v[103:104], v12 offset0:98 offset1:188
	ds_read2_b32 v[105:106], v15 offset0:66 offset1:156
	ds_read2_b32 v[107:108], v24 offset0:70 offset1:160
	s_waitcnt vmcnt(9)
	v_mul_f32_e32 v12, v28, v32
	v_mul_f32_e32 v15, v8, v30
	s_waitcnt vmcnt(8)
	v_mul_f32_e32 v24, v6, v34
	v_mul_f32_e32 v56, v14, v36
	s_waitcnt lgkmcnt(12)
	v_mul_f32_e32 v32, v38, v32
	s_waitcnt lgkmcnt(11)
	;; [unrolled: 2-line block ×4, first 2 shown]
	v_mul_f32_e32 v36, v82, v36
	v_fma_f32 v12, v31, v38, -v12
	v_fma_f32 v15, v29, v54, -v15
	;; [unrolled: 1-line block ×4, first 2 shown]
	v_fmac_f32_e32 v32, v28, v31
	v_fmac_f32_e32 v34, v6, v33
	v_fmac_f32_e32 v30, v8, v29
	v_fmac_f32_e32 v36, v14, v35
	s_waitcnt vmcnt(7)
	v_mul_f32_e32 v6, v27, v43
	v_mul_f32_e32 v8, v17, v41
	s_waitcnt vmcnt(6)
	v_mul_f32_e32 v14, v19, v51
	v_mul_f32_e32 v28, v13, v53
	;; [unrolled: 1-line block ×3, first 2 shown]
	s_waitcnt lgkmcnt(4)
	v_mul_f32_e32 v31, v100, v51
	v_mul_f32_e32 v33, v98, v41
	;; [unrolled: 1-line block ×3, first 2 shown]
	v_sub_f32_e32 v35, v12, v15
	v_sub_f32_e32 v43, v24, v38
	v_add_f32_e32 v51, v15, v38
	v_sub_f32_e32 v53, v30, v36
	v_add_f32_e32 v82, v12, v24
	v_add_f32_e32 v109, v15, v86
	v_sub_f32_e32 v110, v32, v30
	v_add_f32_e32 v113, v30, v36
	v_sub_f32_e32 v115, v30, v32
	v_add_f32_e32 v117, v32, v34
	v_add_f32_e32 v30, v26, v30
	v_fma_f32 v6, v42, v37, -v6
	v_fma_f32 v8, v40, v98, -v8
	;; [unrolled: 1-line block ×4, first 2 shown]
	v_fmac_f32_e32 v29, v27, v42
	v_fmac_f32_e32 v31, v19, v50
	;; [unrolled: 1-line block ×4, first 2 shown]
	s_waitcnt vmcnt(5)
	v_mul_f32_e32 v17, v23, v60
	v_mul_f32_e32 v19, v16, v58
	s_waitcnt vmcnt(4)
	v_mul_f32_e32 v27, v18, v62
	v_mul_f32_e32 v28, v21, v64
	s_waitcnt lgkmcnt(2)
	v_mul_f32_e32 v52, v104, v64
	v_sub_f32_e32 v44, v32, v34
	v_sub_f32_e32 v54, v15, v12
	;; [unrolled: 1-line block ×7, first 2 shown]
	v_mul_f32_e32 v40, v102, v60
	v_mul_f32_e32 v42, v99, v62
	;; [unrolled: 1-line block ×3, first 2 shown]
	v_add_f32_e32 v43, v35, v43
	v_fma_f32 v13, -0.5, v51, v86
	v_fma_f32 v15, -0.5, v82, v86
	v_add_f32_e32 v35, v12, v109
	v_fma_f32 v12, -0.5, v113, v26
	v_fma_f32 v14, -0.5, v117, v26
	v_add_f32_e32 v26, v32, v30
	v_sub_f32_e32 v30, v6, v8
	v_sub_f32_e32 v32, v37, v81
	v_add_f32_e32 v86, v6, v37
	v_add_f32_e32 v98, v8, v85
	v_fma_f32 v102, v59, v102, -v17
	v_fma_f32 v97, v57, v97, -v19
	;; [unrolled: 1-line block ×4, first 2 shown]
	v_fmac_f32_e32 v52, v21, v63
	s_waitcnt vmcnt(3)
	v_mul_f32_e32 v21, v22, v68
	s_waitcnt vmcnt(2)
	v_mul_f32_e32 v28, v11, v70
	v_add_f32_e32 v51, v54, v56
	v_add_f32_e32 v54, v110, v111
	;; [unrolled: 1-line block ×4, first 2 shown]
	v_sub_f32_e32 v62, v33, v41
	v_sub_f32_e32 v64, v8, v6
	;; [unrolled: 1-line block ×5, first 2 shown]
	v_add_f32_e32 v110, v33, v41
	v_sub_f32_e32 v113, v33, v29
	v_sub_f32_e32 v115, v41, v31
	v_add_f32_e32 v33, v25, v33
	v_fmac_f32_e32 v40, v23, v59
	v_fmac_f32_e32 v42, v18, v61
	;; [unrolled: 1-line block ×3, first 2 shown]
	v_mul_f32_e32 v27, v5, v66
	v_mul_f32_e32 v57, v20, v72
	;; [unrolled: 1-line block ×3, first 2 shown]
	s_waitcnt lgkmcnt(0)
	v_mul_f32_e32 v61, v108, v70
	v_mul_f32_e32 v63, v106, v66
	;; [unrolled: 1-line block ×3, first 2 shown]
	v_fmamk_f32 v19, v44, 0x3f737871, v13
	v_fmac_f32_e32 v13, 0xbf737871, v44
	v_add_f32_e32 v34, v26, v34
	v_add_f32_e32 v68, v30, v32
	v_fma_f32 v26, -0.5, v86, v85
	v_add_f32_e32 v30, v6, v98
	v_sub_f32_e32 v86, v97, v102
	v_sub_f32_e32 v98, v104, v99
	v_fma_f32 v101, v67, v101, -v21
	v_fma_f32 v108, v69, v108, -v28
	v_sub_f32_e32 v58, v29, v31
	v_add_f32_e32 v116, v29, v31
	v_fmamk_f32 v17, v53, 0xbf737871, v15
	v_fmac_f32_e32 v15, 0x3f737871, v53
	v_add_f32_e32 v35, v24, v35
	v_fmamk_f32 v18, v114, 0xbf737871, v12
	v_fmac_f32_e32 v12, 0x3f737871, v114
	v_fma_f32 v24, -0.5, v60, v85
	v_add_f32_e32 v60, v64, v82
	v_add_f32_e32 v64, v100, v109
	v_fma_f32 v23, -0.5, v110, v25
	v_add_f32_e32 v70, v113, v115
	v_add_f32_e32 v29, v29, v33
	v_sub_f32_e32 v32, v102, v97
	v_sub_f32_e32 v33, v99, v104
	v_add_f32_e32 v82, v97, v104
	v_sub_f32_e32 v85, v50, v52
	v_add_f32_e32 v100, v102, v99
	;; [unrolled: 2-line block ×4, first 2 shown]
	v_add_f32_e32 v50, v3, v50
	v_fma_f32 v106, v65, v106, -v27
	v_fma_f32 v57, v71, v103, -v57
	v_fmac_f32_e32 v63, v5, v65
	v_fmac_f32_e32 v66, v20, v71
	;; [unrolled: 1-line block ×4, first 2 shown]
	v_add_f32_e32 v65, v86, v98
	v_add_f32_e32 v98, v101, v108
	v_sub_f32_e32 v111, v6, v37
	v_add_f32_e32 v109, v97, v84
	v_fmac_f32_e32 v59, v22, v67
	v_fmac_f32_e32 v61, v11, v69
	;; [unrolled: 1-line block ×4, first 2 shown]
	v_add_f32_e32 v6, v38, v35
	v_fmac_f32_e32 v18, 0x3f167918, v112
	v_fmac_f32_e32 v12, 0xbf167918, v112
	v_add_f32_e32 v5, v34, v36
	v_add_f32_e32 v22, v29, v31
	;; [unrolled: 1-line block ×3, first 2 shown]
	v_fma_f32 v32, -0.5, v82, v84
	v_fma_f32 v36, -0.5, v100, v84
	;; [unrolled: 1-line block ×4, first 2 shown]
	v_add_f32_e32 v3, v40, v50
	v_add_f32_e32 v53, v106, v57
	v_sub_f32_e32 v82, v63, v66
	v_add_f32_e32 v100, v106, v49
	v_fmac_f32_e32 v19, 0x3e9e377a, v43
	v_fmac_f32_e32 v13, 0x3e9e377a, v43
	v_fma_f32 v43, -0.5, v98, v49
	v_sub_f32_e32 v8, v8, v81
	v_fma_f32 v25, -0.5, v116, v25
	v_sub_f32_e32 v72, v40, v42
	v_fmamk_f32 v27, v111, 0xbf737871, v23
	v_fmac_f32_e32 v23, 0x3f737871, v111
	v_add_f32_e32 v33, v102, v109
	v_sub_f32_e32 v71, v59, v61
	v_sub_f32_e32 v84, v106, v101
	;; [unrolled: 1-line block ×3, first 2 shown]
	v_fmac_f32_e32 v17, 0x3e9e377a, v51
	v_fmac_f32_e32 v15, 0x3e9e377a, v51
	;; [unrolled: 1-line block ×4, first 2 shown]
	v_add_f32_e32 v29, v22, v41
	v_add_f32_e32 v3, v3, v42
	v_fma_f32 v41, -0.5, v53, v49
	v_add_f32_e32 v51, v101, v100
	v_fmamk_f32 v54, v82, 0xbf737871, v43
	v_fmac_f32_e32 v43, 0x3f737871, v82
	v_fmamk_f32 v16, v112, 0x3f737871, v14
	v_fmac_f32_e32 v14, 0xbf737871, v112
	v_sub_f32_e32 v113, v42, v52
	v_sub_f32_e32 v118, v52, v42
	v_add_f32_e32 v11, v37, v30
	v_fmamk_f32 v20, v8, 0x3f737871, v25
	v_fmac_f32_e32 v25, 0xbf737871, v8
	v_sub_f32_e32 v40, v101, v106
	v_sub_f32_e32 v50, v108, v57
	v_fmac_f32_e32 v27, 0x3f167918, v8
	v_fmac_f32_e32 v23, 0xbf167918, v8
	v_fmamk_f32 v38, v72, 0x3f737871, v32
	v_fmac_f32_e32 v32, 0xbf737871, v72
	v_add_f32_e32 v8, v99, v33
	v_add_f32_e32 v22, v84, v86
	;; [unrolled: 1-line block ×3, first 2 shown]
	v_fmamk_f32 v52, v71, 0x3f737871, v41
	v_fmac_f32_e32 v41, 0xbf737871, v71
	v_add_f32_e32 v3, v108, v51
	v_fmac_f32_e32 v54, 0xbf167918, v71
	v_fmac_f32_e32 v43, 0x3f167918, v71
	;; [unrolled: 1-line block ×4, first 2 shown]
	v_add_f32_e32 v109, v63, v66
	v_add_f32_e32 v114, v59, v61
	v_add_f32_e32 v30, v81, v11
	v_add_f32_e32 v11, v40, v50
	v_fmac_f32_e32 v38, 0xbf167918, v85
	v_fmac_f32_e32 v32, 0x3f167918, v85
	v_add_f32_e32 v50, v104, v8
	v_fmac_f32_e32 v52, 0xbf167918, v82
	v_fmac_f32_e32 v41, 0x3f167918, v82
	v_add_f32_e32 v8, v57, v3
	v_fmac_f32_e32 v54, 0x3e9e377a, v22
	v_fmac_f32_e32 v43, 0x3e9e377a, v22
	s_waitcnt vmcnt(1)
	v_mul_f32_e32 v3, v4, v74
	s_waitcnt vmcnt(0)
	v_mul_f32_e32 v22, v7, v80
	v_sub_f32_e32 v106, v106, v57
	v_fma_f32 v40, -0.5, v109, v39
	v_fma_f32 v42, -0.5, v114, v39
	v_fmac_f32_e32 v38, 0x3e9e377a, v44
	v_fmac_f32_e32 v32, 0x3e9e377a, v44
	;; [unrolled: 1-line block ×4, first 2 shown]
	v_add_f32_e32 v11, v39, v63
	v_mul_f32_e32 v39, v9, v76
	v_fma_f32 v3, v73, v105, -v3
	v_mul_f32_e32 v57, v55, v76
	v_fma_f32 v22, v79, v45, -v22
	v_mul_f32_e32 v44, v10, v78
	v_fmamk_f32 v28, v58, 0x3f737871, v24
	v_fmac_f32_e32 v24, 0xbf737871, v58
	v_sub_f32_e32 v116, v102, v99
	v_fmamk_f32 v21, v62, 0xbf737871, v26
	v_fmac_f32_e32 v26, 0x3f737871, v62
	v_add_f32_e32 v67, v110, v113
	v_sub_f32_e32 v102, v59, v63
	v_sub_f32_e32 v110, v101, v108
	;; [unrolled: 1-line block ×4, first 2 shown]
	v_fmac_f32_e32 v27, 0x3e9e377a, v64
	v_fmac_f32_e32 v23, 0x3e9e377a, v64
	v_fmamk_f32 v53, v106, 0x3f737871, v42
	v_fmac_f32_e32 v42, 0xbf737871, v106
	v_mul_f32_e32 v63, v107, v78
	v_fma_f32 v39, v75, v55, -v39
	v_fmac_f32_e32 v57, v9, v75
	v_add_f32_e32 v9, v3, v22
	v_mul_f32_e32 v64, v45, v80
	v_fma_f32 v44, v77, v107, -v44
	v_fmac_f32_e32 v28, 0xbf167918, v62
	v_fmac_f32_e32 v24, 0x3f167918, v62
	v_mul_f32_e32 v62, v105, v74
	v_fmac_f32_e32 v21, 0xbf167918, v58
	v_fmac_f32_e32 v26, 0x3f167918, v58
	v_add_f32_e32 v58, v112, v113
	v_fmac_f32_e32 v53, 0x3f167918, v110
	v_fmac_f32_e32 v42, 0xbf167918, v110
	;; [unrolled: 1-line block ×3, first 2 shown]
	v_fma_f32 v10, -0.5, v9, v83
	v_fmac_f32_e32 v64, v7, v79
	v_add_f32_e32 v7, v59, v11
	v_sub_f32_e32 v9, v39, v3
	v_sub_f32_e32 v11, v44, v22
	;; [unrolled: 1-line block ×3, first 2 shown]
	v_fmamk_f32 v51, v110, 0xbf737871, v40
	v_fmac_f32_e32 v40, 0x3f737871, v110
	v_fmac_f32_e32 v62, v4, v73
	v_add_f32_e32 v45, v39, v44
	v_fmac_f32_e32 v53, 0x3e9e377a, v58
	v_sub_f32_e32 v55, v57, v63
	v_fmac_f32_e32 v42, 0x3e9e377a, v58
	v_add_f32_e32 v9, v9, v11
	v_sub_f32_e32 v11, v3, v39
	v_sub_f32_e32 v58, v22, v44
	v_fmac_f32_e32 v16, 0x3e9e377a, v56
	v_fmac_f32_e32 v14, 0x3e9e377a, v56
	v_add_f32_e32 v56, v102, v103
	v_fmac_f32_e32 v51, 0x3f167918, v106
	v_fmac_f32_e32 v40, 0xbf167918, v106
	v_sub_f32_e32 v59, v62, v64
	v_fma_f32 v45, -0.5, v45, v83
	v_fmamk_f32 v4, v55, 0x3f737871, v10
	v_fmac_f32_e32 v10, 0xbf737871, v55
	v_add_f32_e32 v11, v11, v58
	v_add_f32_e32 v58, v3, v83
	v_fmac_f32_e32 v51, 0x3e9e377a, v56
	v_fmac_f32_e32 v40, 0x3e9e377a, v56
	v_fmamk_f32 v56, v59, 0xbf737871, v45
	v_fmac_f32_e32 v45, 0x3f737871, v59
	v_fmac_f32_e32 v4, 0xbf167918, v59
	;; [unrolled: 1-line block ×3, first 2 shown]
	v_add_f32_e32 v59, v62, v64
	v_add_f32_e32 v58, v39, v58
	v_fmac_f32_e32 v56, 0xbf167918, v55
	v_fmac_f32_e32 v45, 0x3f167918, v55
	;; [unrolled: 1-line block ×4, first 2 shown]
	v_fma_f32 v9, -0.5, v59, v2
	v_sub_f32_e32 v39, v39, v44
	v_add_f32_e32 v44, v44, v58
	v_sub_f32_e32 v55, v57, v62
	v_sub_f32_e32 v59, v63, v64
	v_fmac_f32_e32 v56, 0x3e9e377a, v11
	v_fmac_f32_e32 v45, 0x3e9e377a, v11
	v_add_f32_e32 v11, v57, v63
	v_fmac_f32_e32 v21, 0x3e9e377a, v60
	v_fmac_f32_e32 v26, 0x3e9e377a, v60
	v_add_f32_e32 v7, v7, v61
	v_sub_f32_e32 v61, v3, v22
	v_add_f32_e32 v58, v22, v44
	v_add_f32_e32 v22, v55, v59
	v_mad_u64_u32 v[59:60], null, s2, v96, 0
	v_fmamk_f32 v3, v39, 0xbf737871, v9
	v_fmac_f32_e32 v9, 0x3f737871, v39
	v_fma_f32 v44, -0.5, v11, v2
	v_sub_f32_e32 v97, v97, v104
	v_fmamk_f32 v34, v85, 0xbf737871, v36
	v_fmac_f32_e32 v3, 0x3f167918, v61
	v_fmac_f32_e32 v9, 0xbf167918, v61
	v_fmamk_f32 v55, v61, 0x3f737871, v44
	v_fmac_f32_e32 v44, 0xbf737871, v61
	v_add_f32_e32 v61, v2, v62
	v_mov_b32_e32 v2, v60
	v_fmac_f32_e32 v36, 0x3f737871, v85
	v_fmac_f32_e32 v55, 0x3f167918, v39
	;; [unrolled: 1-line block ×3, first 2 shown]
	v_add_f32_e32 v39, v57, v61
	v_mad_u64_u32 v[60:61], null, s3, v96, v[2:3]
	v_sub_f32_e32 v11, v62, v57
	v_mad_u64_u32 v[61:62], null, s2, v95, 0
	v_fmamk_f32 v33, v97, 0x3f737871, v35
	v_fmac_f32_e32 v35, 0xbf737871, v97
	v_fmac_f32_e32 v34, 0xbf167918, v72
	;; [unrolled: 1-line block ×3, first 2 shown]
	v_add_f32_e32 v2, v39, v63
	v_add_f32_e32 v69, v117, v118
	v_fmac_f32_e32 v33, 0x3f167918, v116
	v_fmac_f32_e32 v35, 0xbf167918, v116
	;; [unrolled: 1-line block ×6, first 2 shown]
	v_sub_f32_e32 v65, v64, v63
	v_fmac_f32_e32 v3, 0x3e9e377a, v22
	v_add_f32_e32 v57, v2, v64
	v_mov_b32_e32 v2, v62
	v_mad_u64_u32 v[63:64], null, s2, v94, 0
	v_fmamk_f32 v37, v116, 0xbf737871, v31
	v_fmac_f32_e32 v31, 0x3f737871, v116
	v_fmac_f32_e32 v33, 0x3e9e377a, v69
	;; [unrolled: 1-line block ×3, first 2 shown]
	v_add_co_u32 v69, vcc_lo, s12, v0
	v_fmac_f32_e32 v20, 0x3e9e377a, v70
	v_fmac_f32_e32 v25, 0x3e9e377a, v70
	v_add_f32_e32 v7, v7, v66
	v_add_f32_e32 v11, v11, v65
	v_add_co_ci_u32_e32 v70, vcc_lo, s13, v1, vcc_lo
	v_lshlrev_b64 v[0:1], 3, v[59:60]
	v_mad_u64_u32 v[59:60], null, s3, v95, v[2:3]
	v_mad_u64_u32 v[65:66], null, s2, v92, 0
	v_fmac_f32_e32 v37, 0x3f167918, v97
	v_fmac_f32_e32 v31, 0xbf167918, v97
	v_mov_b32_e32 v2, v64
	v_add_co_u32 v0, vcc_lo, v69, v0
	v_fmac_f32_e32 v28, 0x3e9e377a, v68
	v_fmac_f32_e32 v24, 0x3e9e377a, v68
	;; [unrolled: 1-line block ×4, first 2 shown]
	v_mad_u64_u32 v[67:68], null, s2, v93, 0
	v_add_co_ci_u32_e32 v1, vcc_lo, v70, v1, vcc_lo
	v_mov_b32_e32 v62, v59
	v_mad_u64_u32 v[59:60], null, s3, v94, v[2:3]
	v_mov_b32_e32 v2, v66
	global_store_dwordx2 v[0:1], v[57:58], off
	v_mov_b32_e32 v0, v68
	v_lshlrev_b64 v[57:58], 3, v[61:62]
	v_fmac_f32_e32 v44, 0x3e9e377a, v11
	v_mad_u64_u32 v[1:2], null, s3, v92, v[2:3]
	v_mov_b32_e32 v64, v59
	v_fmac_f32_e32 v9, 0x3e9e377a, v22
	v_add_co_u32 v57, vcc_lo, v69, v57
	v_add_co_ci_u32_e32 v58, vcc_lo, v70, v58, vcc_lo
	v_mad_u64_u32 v[60:61], null, s3, v93, v[0:1]
	v_lshlrev_b64 v[61:62], 3, v[63:64]
	v_mov_b32_e32 v66, v1
	v_mad_u64_u32 v[0:1], null, s2, v90, 0
	v_fmac_f32_e32 v55, 0x3e9e377a, v11
	v_add_co_u32 v59, vcc_lo, v69, v61
	v_mov_b32_e32 v68, v60
	v_add_co_ci_u32_e32 v60, vcc_lo, v70, v62, vcc_lo
	v_lshlrev_b64 v[61:62], 3, v[65:66]
	v_mad_u64_u32 v[65:66], null, s2, v91, 0
	v_mad_u64_u32 v[1:2], null, s3, v90, v[1:2]
	v_lshlrev_b64 v[63:64], 3, v[67:68]
	v_add_co_u32 v61, vcc_lo, v69, v61
	v_add_co_ci_u32_e32 v62, vcc_lo, v70, v62, vcc_lo
	v_mov_b32_e32 v2, v66
	v_add_co_u32 v63, vcc_lo, v69, v63
	v_add_co_ci_u32_e32 v64, vcc_lo, v70, v64, vcc_lo
	v_mad_u64_u32 v[66:67], null, s3, v91, v[2:3]
	v_mad_u64_u32 v[67:68], null, s2, v89, 0
	global_store_dwordx2 v[57:58], v[44:45], off
	global_store_dwordx2 v[59:60], v[9:10], off
	;; [unrolled: 1-line block ×4, first 2 shown]
	v_mad_u64_u32 v[3:4], null, s2, v88, 0
	v_lshlrev_b64 v[0:1], 3, v[0:1]
	v_lshlrev_b64 v[9:10], 3, v[65:66]
	v_mad_u64_u32 v[55:56], null, s2, v87, 0
	v_mov_b32_e32 v2, v68
	v_add_co_u32 v0, vcc_lo, v69, v0
	v_add_co_ci_u32_e32 v1, vcc_lo, v70, v1, vcc_lo
	v_mad_u64_u32 v[44:45], null, s3, v89, v[2:3]
	v_mov_b32_e32 v2, v4
	v_mul_hi_u32 v4, 0x91a2b3c5, v48
	v_add_co_u32 v9, vcc_lo, v69, v9
	v_add_co_ci_u32_e32 v10, vcc_lo, v70, v10, vcc_lo
	v_mov_b32_e32 v68, v44
	v_mad_u64_u32 v[57:58], null, s3, v88, v[2:3]
	v_lshrrev_b32_e32 v4, 8, v4
	global_store_dwordx2 v[0:1], v[7:8], off
	global_store_dwordx2 v[9:10], v[42:43], off
	v_lshlrev_b64 v[1:2], 3, v[67:68]
	v_mov_b32_e32 v0, v56
	v_mad_u32_u24 v22, 0x708, v4, v48
	v_mov_b32_e32 v4, v57
	v_mad_u64_u32 v[7:8], null, s3, v87, v[0:1]
	v_mad_u64_u32 v[8:9], null, s2, v22, 0
	v_add_nc_u32_e32 v39, 0x1c2, v22
	v_add_co_u32 v0, vcc_lo, v69, v1
	v_add_co_ci_u32_e32 v1, vcc_lo, v70, v2, vcc_lo
	v_mad_u64_u32 v[10:11], null, s2, v39, 0
	v_lshlrev_b64 v[2:3], 3, v[3:4]
	v_mov_b32_e32 v56, v7
	v_mov_b32_e32 v4, v9
	v_lshlrev_b64 v[42:43], 3, v[55:56]
	v_mad_u64_u32 v[44:45], null, s3, v22, v[4:5]
	v_mov_b32_e32 v4, v11
	v_add_nc_u32_e32 v45, 0x384, v22
	v_add_co_u32 v2, vcc_lo, v69, v2
	v_add_co_ci_u32_e32 v3, vcc_lo, v70, v3, vcc_lo
	v_mad_u64_u32 v[55:56], null, s3, v39, v[4:5]
	v_add_co_u32 v42, vcc_lo, v69, v42
	v_mad_u64_u32 v[56:57], null, s2, v45, 0
	v_add_nc_u32_e32 v39, 0x546, v22
	v_add_co_ci_u32_e32 v43, vcc_lo, v70, v43, vcc_lo
	global_store_dwordx2 v[0:1], v[40:41], off
	global_store_dwordx2 v[2:3], v[51:52], off
	global_store_dwordx2 v[42:43], v[53:54], off
	v_mad_u64_u32 v[3:4], null, s2, v39, 0
	v_mov_b32_e32 v9, v44
	v_mov_b32_e32 v11, v55
	;; [unrolled: 1-line block ×3, first 2 shown]
	v_add_nc_u32_e32 v22, 0x708, v22
	v_lshlrev_b64 v[0:1], 3, v[8:9]
	v_lshlrev_b64 v[7:8], 3, v[10:11]
	v_mad_u64_u32 v[9:10], null, s3, v45, v[2:3]
	v_mov_b32_e32 v2, v4
	v_mul_hi_u32 v4, 0x91a2b3c5, v47
	v_add_co_u32 v0, vcc_lo, v69, v0
	v_add_co_ci_u32_e32 v1, vcc_lo, v70, v1, vcc_lo
	v_mad_u64_u32 v[10:11], null, s2, v22, 0
	v_add_co_u32 v7, vcc_lo, v69, v7
	v_mov_b32_e32 v57, v9
	v_add_co_ci_u32_e32 v8, vcc_lo, v70, v8, vcc_lo
	v_mad_u64_u32 v[39:40], null, s3, v39, v[2:3]
	v_lshrrev_b32_e32 v4, 8, v4
	global_store_dwordx2 v[0:1], v[49:50], off
	global_store_dwordx2 v[7:8], v[35:36], off
	v_lshlrev_b64 v[1:2], 3, v[56:57]
	v_mov_b32_e32 v0, v11
	v_mad_u32_u24 v41, 0x708, v4, v47
	v_mov_b32_e32 v4, v39
	v_mad_u64_u32 v[7:8], null, s3, v22, v[0:1]
	v_mad_u64_u32 v[8:9], null, s2, v41, 0
	v_add_co_u32 v0, vcc_lo, v69, v1
	v_add_nc_u32_e32 v22, 0x1c2, v41
	v_add_co_ci_u32_e32 v1, vcc_lo, v70, v2, vcc_lo
	v_lshlrev_b64 v[2:3], 3, v[3:4]
	v_mov_b32_e32 v11, v7
	v_mad_u64_u32 v[35:36], null, s2, v22, 0
	v_mov_b32_e32 v4, v9
	v_add_co_u32 v2, vcc_lo, v69, v2
	v_lshlrev_b64 v[9:10], 3, v[10:11]
	v_add_co_ci_u32_e32 v3, vcc_lo, v70, v3, vcc_lo
	v_mad_u64_u32 v[39:40], null, s3, v41, v[4:5]
	global_store_dwordx2 v[0:1], v[31:32], off
	global_store_dwordx2 v[2:3], v[37:38], off
	v_mov_b32_e32 v0, v36
	v_add_co_u32 v1, vcc_lo, v69, v9
	v_add_co_ci_u32_e32 v2, vcc_lo, v70, v10, vcc_lo
	v_mov_b32_e32 v9, v39
	v_mad_u64_u32 v[3:4], null, s3, v22, v[0:1]
	v_add_nc_u32_e32 v11, 0x384, v41
	global_store_dwordx2 v[1:2], v[33:34], off
	v_add_nc_u32_e32 v22, 0x546, v41
	v_lshlrev_b64 v[0:1], 3, v[8:9]
	v_add_nc_u32_e32 v34, 0x708, v41
	v_mad_u64_u32 v[7:8], null, s2, v11, 0
	v_mov_b32_e32 v36, v3
	v_mad_u64_u32 v[9:10], null, s2, v22, 0
	v_add_co_u32 v0, vcc_lo, v69, v0
	v_lshlrev_b64 v[3:4], 3, v[35:36]
	v_mov_b32_e32 v2, v8
	v_add_co_ci_u32_e32 v1, vcc_lo, v70, v1, vcc_lo
	v_mov_b32_e32 v8, v10
	v_mad_u64_u32 v[10:11], null, s3, v11, v[2:3]
	v_add_co_u32 v2, vcc_lo, v69, v3
	v_mad_u64_u32 v[31:32], null, s3, v22, v[8:9]
	v_mad_u64_u32 v[32:33], null, s2, v34, 0
	v_add_co_ci_u32_e32 v3, vcc_lo, v70, v4, vcc_lo
	v_mov_b32_e32 v8, v10
	v_mul_hi_u32 v11, 0x91a2b3c5, v46
	global_store_dwordx2 v[0:1], v[29:30], off
	global_store_dwordx2 v[2:3], v[25:26], off
	v_mov_b32_e32 v0, v33
	v_lshlrev_b64 v[1:2], 3, v[7:8]
	v_mov_b32_e32 v10, v31
	v_mad_u64_u32 v[7:8], null, s3, v34, v[0:1]
	v_lshrrev_b32_e32 v8, 8, v11
	v_lshlrev_b64 v[3:4], 3, v[9:10]
	v_add_co_u32 v0, vcc_lo, v69, v1
	v_add_co_ci_u32_e32 v1, vcc_lo, v70, v2, vcc_lo
	v_mad_u32_u24 v11, 0x708, v8, v46
	v_add_co_u32 v2, vcc_lo, v69, v3
	v_mov_b32_e32 v33, v7
	v_add_co_ci_u32_e32 v3, vcc_lo, v70, v4, vcc_lo
	v_mad_u64_u32 v[7:8], null, s2, v11, 0
	global_store_dwordx2 v[0:1], v[23:24], off
	v_add_nc_u32_e32 v24, 0x1c2, v11
	v_add_nc_u32_e32 v25, 0x384, v11
	global_store_dwordx2 v[2:3], v[27:28], off
	v_lshlrev_b64 v[0:1], 3, v[32:33]
	v_add_nc_u32_e32 v27, 0x546, v11
	v_mad_u64_u32 v[2:3], null, s2, v24, 0
	v_mad_u64_u32 v[9:10], null, s2, v25, 0
	v_mov_b32_e32 v4, v8
	v_add_co_u32 v0, vcc_lo, v69, v0
	v_add_nc_u32_e32 v28, 0x708, v11
	v_add_co_ci_u32_e32 v1, vcc_lo, v70, v1, vcc_lo
	v_mad_u64_u32 v[22:23], null, s3, v11, v[4:5]
	v_mad_u64_u32 v[3:4], null, s3, v24, v[3:4]
	v_mad_u64_u32 v[23:24], null, s2, v27, 0
	v_mov_b32_e32 v4, v10
	global_store_dwordx2 v[0:1], v[20:21], off
	v_mov_b32_e32 v8, v22
	v_lshlrev_b64 v[2:3], 3, v[2:3]
	v_mad_u64_u32 v[10:11], null, s3, v25, v[4:5]
	v_mad_u64_u32 v[25:26], null, s2, v28, 0
	v_mov_b32_e32 v0, v24
	v_lshlrev_b64 v[7:8], 3, v[7:8]
	v_lshlrev_b64 v[9:10], 3, v[9:10]
	v_mad_u64_u32 v[0:1], null, s3, v27, v[0:1]
	v_mov_b32_e32 v1, v26
	v_add_co_u32 v7, vcc_lo, v69, v7
	v_add_co_ci_u32_e32 v8, vcc_lo, v70, v8, vcc_lo
	v_mad_u64_u32 v[20:21], null, s3, v28, v[1:2]
	v_mov_b32_e32 v24, v0
	v_add_co_u32 v0, vcc_lo, v69, v2
	v_add_co_ci_u32_e32 v1, vcc_lo, v70, v3, vcc_lo
	v_lshlrev_b64 v[2:3], 3, v[23:24]
	v_mov_b32_e32 v26, v20
	v_add_co_u32 v9, vcc_lo, v69, v9
	v_add_co_ci_u32_e32 v10, vcc_lo, v70, v10, vcc_lo
	v_lshlrev_b64 v[20:21], 3, v[25:26]
	v_add_co_u32 v2, vcc_lo, v69, v2
	v_add_co_ci_u32_e32 v3, vcc_lo, v70, v3, vcc_lo
	v_add_co_u32 v20, vcc_lo, v69, v20
	v_add_co_ci_u32_e32 v21, vcc_lo, v70, v21, vcc_lo
	global_store_dwordx2 v[7:8], v[5:6], off
	global_store_dwordx2 v[0:1], v[14:15], off
	;; [unrolled: 1-line block ×5, first 2 shown]
.LBB0_37:
	s_endpgm
	.section	.rodata,"a",@progbits
	.p2align	6, 0x0
	.amdhsa_kernel fft_rtc_back_len2250_factors_10_3_5_3_5_wgs_90_tpt_90_halfLds_sp_ip_CI_sbrr_dirReg
		.amdhsa_group_segment_fixed_size 0
		.amdhsa_private_segment_fixed_size 0
		.amdhsa_kernarg_size 88
		.amdhsa_user_sgpr_count 6
		.amdhsa_user_sgpr_private_segment_buffer 1
		.amdhsa_user_sgpr_dispatch_ptr 0
		.amdhsa_user_sgpr_queue_ptr 0
		.amdhsa_user_sgpr_kernarg_segment_ptr 1
		.amdhsa_user_sgpr_dispatch_id 0
		.amdhsa_user_sgpr_flat_scratch_init 0
		.amdhsa_user_sgpr_private_segment_size 0
		.amdhsa_wavefront_size32 1
		.amdhsa_uses_dynamic_stack 0
		.amdhsa_system_sgpr_private_segment_wavefront_offset 0
		.amdhsa_system_sgpr_workgroup_id_x 1
		.amdhsa_system_sgpr_workgroup_id_y 0
		.amdhsa_system_sgpr_workgroup_id_z 0
		.amdhsa_system_sgpr_workgroup_info 0
		.amdhsa_system_vgpr_workitem_id 0
		.amdhsa_next_free_vgpr 147
		.amdhsa_next_free_sgpr 23
		.amdhsa_reserve_vcc 1
		.amdhsa_reserve_flat_scratch 0
		.amdhsa_float_round_mode_32 0
		.amdhsa_float_round_mode_16_64 0
		.amdhsa_float_denorm_mode_32 3
		.amdhsa_float_denorm_mode_16_64 3
		.amdhsa_dx10_clamp 1
		.amdhsa_ieee_mode 1
		.amdhsa_fp16_overflow 0
		.amdhsa_workgroup_processor_mode 1
		.amdhsa_memory_ordered 1
		.amdhsa_forward_progress 0
		.amdhsa_shared_vgpr_count 0
		.amdhsa_exception_fp_ieee_invalid_op 0
		.amdhsa_exception_fp_denorm_src 0
		.amdhsa_exception_fp_ieee_div_zero 0
		.amdhsa_exception_fp_ieee_overflow 0
		.amdhsa_exception_fp_ieee_underflow 0
		.amdhsa_exception_fp_ieee_inexact 0
		.amdhsa_exception_int_div_zero 0
	.end_amdhsa_kernel
	.text
.Lfunc_end0:
	.size	fft_rtc_back_len2250_factors_10_3_5_3_5_wgs_90_tpt_90_halfLds_sp_ip_CI_sbrr_dirReg, .Lfunc_end0-fft_rtc_back_len2250_factors_10_3_5_3_5_wgs_90_tpt_90_halfLds_sp_ip_CI_sbrr_dirReg
                                        ; -- End function
	.section	.AMDGPU.csdata,"",@progbits
; Kernel info:
; codeLenInByte = 18668
; NumSgprs: 25
; NumVgprs: 147
; ScratchSize: 0
; MemoryBound: 0
; FloatMode: 240
; IeeeMode: 1
; LDSByteSize: 0 bytes/workgroup (compile time only)
; SGPRBlocks: 3
; VGPRBlocks: 18
; NumSGPRsForWavesPerEU: 25
; NumVGPRsForWavesPerEU: 147
; Occupancy: 6
; WaveLimiterHint : 1
; COMPUTE_PGM_RSRC2:SCRATCH_EN: 0
; COMPUTE_PGM_RSRC2:USER_SGPR: 6
; COMPUTE_PGM_RSRC2:TRAP_HANDLER: 0
; COMPUTE_PGM_RSRC2:TGID_X_EN: 1
; COMPUTE_PGM_RSRC2:TGID_Y_EN: 0
; COMPUTE_PGM_RSRC2:TGID_Z_EN: 0
; COMPUTE_PGM_RSRC2:TIDIG_COMP_CNT: 0
	.text
	.p2alignl 6, 3214868480
	.fill 48, 4, 3214868480
	.type	__hip_cuid_426b0d99388eae3,@object ; @__hip_cuid_426b0d99388eae3
	.section	.bss,"aw",@nobits
	.globl	__hip_cuid_426b0d99388eae3
__hip_cuid_426b0d99388eae3:
	.byte	0                               ; 0x0
	.size	__hip_cuid_426b0d99388eae3, 1

	.ident	"AMD clang version 19.0.0git (https://github.com/RadeonOpenCompute/llvm-project roc-6.4.0 25133 c7fe45cf4b819c5991fe208aaa96edf142730f1d)"
	.section	".note.GNU-stack","",@progbits
	.addrsig
	.addrsig_sym __hip_cuid_426b0d99388eae3
	.amdgpu_metadata
---
amdhsa.kernels:
  - .args:
      - .actual_access:  read_only
        .address_space:  global
        .offset:         0
        .size:           8
        .value_kind:     global_buffer
      - .offset:         8
        .size:           8
        .value_kind:     by_value
      - .actual_access:  read_only
        .address_space:  global
        .offset:         16
        .size:           8
        .value_kind:     global_buffer
      - .actual_access:  read_only
        .address_space:  global
        .offset:         24
        .size:           8
        .value_kind:     global_buffer
      - .offset:         32
        .size:           8
        .value_kind:     by_value
      - .actual_access:  read_only
        .address_space:  global
        .offset:         40
        .size:           8
        .value_kind:     global_buffer
      - .actual_access:  read_only
        .address_space:  global
        .offset:         48
        .size:           8
        .value_kind:     global_buffer
      - .offset:         56
        .size:           4
        .value_kind:     by_value
      - .actual_access:  read_only
        .address_space:  global
        .offset:         64
        .size:           8
        .value_kind:     global_buffer
      - .actual_access:  read_only
        .address_space:  global
        .offset:         72
        .size:           8
        .value_kind:     global_buffer
      - .address_space:  global
        .offset:         80
        .size:           8
        .value_kind:     global_buffer
    .group_segment_fixed_size: 0
    .kernarg_segment_align: 8
    .kernarg_segment_size: 88
    .language:       OpenCL C
    .language_version:
      - 2
      - 0
    .max_flat_workgroup_size: 90
    .name:           fft_rtc_back_len2250_factors_10_3_5_3_5_wgs_90_tpt_90_halfLds_sp_ip_CI_sbrr_dirReg
    .private_segment_fixed_size: 0
    .sgpr_count:     25
    .sgpr_spill_count: 0
    .symbol:         fft_rtc_back_len2250_factors_10_3_5_3_5_wgs_90_tpt_90_halfLds_sp_ip_CI_sbrr_dirReg.kd
    .uniform_work_group_size: 1
    .uses_dynamic_stack: false
    .vgpr_count:     147
    .vgpr_spill_count: 0
    .wavefront_size: 32
    .workgroup_processor_mode: 1
amdhsa.target:   amdgcn-amd-amdhsa--gfx1030
amdhsa.version:
  - 1
  - 2
...

	.end_amdgpu_metadata
